;; amdgpu-corpus repo=ROCm/rocFFT kind=compiled arch=gfx1100 opt=O3
	.text
	.amdgcn_target "amdgcn-amd-amdhsa--gfx1100"
	.amdhsa_code_object_version 6
	.protected	fft_rtc_fwd_len2160_factors_10_6_6_6_wgs_60_tpt_60_halfLds_dp_ip_CI_unitstride_sbrr_R2C_dirReg ; -- Begin function fft_rtc_fwd_len2160_factors_10_6_6_6_wgs_60_tpt_60_halfLds_dp_ip_CI_unitstride_sbrr_R2C_dirReg
	.globl	fft_rtc_fwd_len2160_factors_10_6_6_6_wgs_60_tpt_60_halfLds_dp_ip_CI_unitstride_sbrr_R2C_dirReg
	.p2align	8
	.type	fft_rtc_fwd_len2160_factors_10_6_6_6_wgs_60_tpt_60_halfLds_dp_ip_CI_unitstride_sbrr_R2C_dirReg,@function
fft_rtc_fwd_len2160_factors_10_6_6_6_wgs_60_tpt_60_halfLds_dp_ip_CI_unitstride_sbrr_R2C_dirReg: ; @fft_rtc_fwd_len2160_factors_10_6_6_6_wgs_60_tpt_60_halfLds_dp_ip_CI_unitstride_sbrr_R2C_dirReg
; %bb.0:
	s_clause 0x2
	s_load_b128 s[4:7], s[0:1], 0x0
	s_load_b64 s[8:9], s[0:1], 0x50
	s_load_b64 s[10:11], s[0:1], 0x18
	v_mul_u32_u24_e32 v1, 0x445, v0
	v_mov_b32_e32 v3, 0
	v_mov_b32_e32 v4, 0
	s_delay_alu instid0(VALU_DEP_3) | instskip(SKIP_1) | instid1(VALU_DEP_1)
	v_lshrrev_b32_e32 v2, 16, v1
	v_mov_b32_e32 v1, 0
	v_dual_mov_b32 v6, v1 :: v_dual_add_nc_u32 v5, s15, v2
	s_waitcnt lgkmcnt(0)
	v_cmp_lt_u64_e64 s2, s[6:7], 2
	s_delay_alu instid0(VALU_DEP_1)
	s_and_b32 vcc_lo, exec_lo, s2
	s_cbranch_vccnz .LBB0_8
; %bb.1:
	s_load_b64 s[2:3], s[0:1], 0x10
	v_mov_b32_e32 v3, 0
	s_add_u32 s12, s10, 8
	v_mov_b32_e32 v4, 0
	s_addc_u32 s13, s11, 0
	s_mov_b64 s[16:17], 1
	s_waitcnt lgkmcnt(0)
	s_add_u32 s14, s2, 8
	s_addc_u32 s15, s3, 0
.LBB0_2:                                ; =>This Inner Loop Header: Depth=1
	s_load_b64 s[18:19], s[14:15], 0x0
                                        ; implicit-def: $vgpr7_vgpr8
	s_mov_b32 s2, exec_lo
	s_waitcnt lgkmcnt(0)
	v_or_b32_e32 v2, s19, v6
	s_delay_alu instid0(VALU_DEP_1)
	v_cmpx_ne_u64_e32 0, v[1:2]
	s_xor_b32 s3, exec_lo, s2
	s_cbranch_execz .LBB0_4
; %bb.3:                                ;   in Loop: Header=BB0_2 Depth=1
	v_cvt_f32_u32_e32 v2, s18
	v_cvt_f32_u32_e32 v7, s19
	s_sub_u32 s2, 0, s18
	s_subb_u32 s20, 0, s19
	s_delay_alu instid0(VALU_DEP_1) | instskip(NEXT) | instid1(VALU_DEP_1)
	v_fmac_f32_e32 v2, 0x4f800000, v7
	v_rcp_f32_e32 v2, v2
	s_waitcnt_depctr 0xfff
	v_mul_f32_e32 v2, 0x5f7ffffc, v2
	s_delay_alu instid0(VALU_DEP_1) | instskip(NEXT) | instid1(VALU_DEP_1)
	v_mul_f32_e32 v7, 0x2f800000, v2
	v_trunc_f32_e32 v7, v7
	s_delay_alu instid0(VALU_DEP_1) | instskip(SKIP_1) | instid1(VALU_DEP_2)
	v_fmac_f32_e32 v2, 0xcf800000, v7
	v_cvt_u32_f32_e32 v7, v7
	v_cvt_u32_f32_e32 v2, v2
	s_delay_alu instid0(VALU_DEP_2) | instskip(NEXT) | instid1(VALU_DEP_2)
	v_mul_lo_u32 v8, s2, v7
	v_mul_hi_u32 v9, s2, v2
	v_mul_lo_u32 v10, s20, v2
	s_delay_alu instid0(VALU_DEP_2) | instskip(SKIP_1) | instid1(VALU_DEP_2)
	v_add_nc_u32_e32 v8, v9, v8
	v_mul_lo_u32 v9, s2, v2
	v_add_nc_u32_e32 v8, v8, v10
	s_delay_alu instid0(VALU_DEP_2) | instskip(NEXT) | instid1(VALU_DEP_2)
	v_mul_hi_u32 v10, v2, v9
	v_mul_lo_u32 v11, v2, v8
	v_mul_hi_u32 v12, v2, v8
	v_mul_hi_u32 v13, v7, v9
	v_mul_lo_u32 v9, v7, v9
	v_mul_hi_u32 v14, v7, v8
	v_mul_lo_u32 v8, v7, v8
	v_add_co_u32 v10, vcc_lo, v10, v11
	v_add_co_ci_u32_e32 v11, vcc_lo, 0, v12, vcc_lo
	s_delay_alu instid0(VALU_DEP_2) | instskip(NEXT) | instid1(VALU_DEP_2)
	v_add_co_u32 v9, vcc_lo, v10, v9
	v_add_co_ci_u32_e32 v9, vcc_lo, v11, v13, vcc_lo
	v_add_co_ci_u32_e32 v10, vcc_lo, 0, v14, vcc_lo
	s_delay_alu instid0(VALU_DEP_2) | instskip(NEXT) | instid1(VALU_DEP_2)
	v_add_co_u32 v8, vcc_lo, v9, v8
	v_add_co_ci_u32_e32 v9, vcc_lo, 0, v10, vcc_lo
	s_delay_alu instid0(VALU_DEP_2) | instskip(NEXT) | instid1(VALU_DEP_2)
	v_add_co_u32 v2, vcc_lo, v2, v8
	v_add_co_ci_u32_e32 v7, vcc_lo, v7, v9, vcc_lo
	s_delay_alu instid0(VALU_DEP_2) | instskip(SKIP_1) | instid1(VALU_DEP_3)
	v_mul_hi_u32 v8, s2, v2
	v_mul_lo_u32 v10, s20, v2
	v_mul_lo_u32 v9, s2, v7
	s_delay_alu instid0(VALU_DEP_1) | instskip(SKIP_1) | instid1(VALU_DEP_2)
	v_add_nc_u32_e32 v8, v8, v9
	v_mul_lo_u32 v9, s2, v2
	v_add_nc_u32_e32 v8, v8, v10
	s_delay_alu instid0(VALU_DEP_2) | instskip(NEXT) | instid1(VALU_DEP_2)
	v_mul_hi_u32 v10, v2, v9
	v_mul_lo_u32 v11, v2, v8
	v_mul_hi_u32 v12, v2, v8
	v_mul_hi_u32 v13, v7, v9
	v_mul_lo_u32 v9, v7, v9
	v_mul_hi_u32 v14, v7, v8
	v_mul_lo_u32 v8, v7, v8
	v_add_co_u32 v10, vcc_lo, v10, v11
	v_add_co_ci_u32_e32 v11, vcc_lo, 0, v12, vcc_lo
	s_delay_alu instid0(VALU_DEP_2) | instskip(NEXT) | instid1(VALU_DEP_2)
	v_add_co_u32 v9, vcc_lo, v10, v9
	v_add_co_ci_u32_e32 v9, vcc_lo, v11, v13, vcc_lo
	v_add_co_ci_u32_e32 v10, vcc_lo, 0, v14, vcc_lo
	s_delay_alu instid0(VALU_DEP_2) | instskip(NEXT) | instid1(VALU_DEP_2)
	v_add_co_u32 v8, vcc_lo, v9, v8
	v_add_co_ci_u32_e32 v9, vcc_lo, 0, v10, vcc_lo
	s_delay_alu instid0(VALU_DEP_2) | instskip(NEXT) | instid1(VALU_DEP_2)
	v_add_co_u32 v2, vcc_lo, v2, v8
	v_add_co_ci_u32_e32 v13, vcc_lo, v7, v9, vcc_lo
	s_delay_alu instid0(VALU_DEP_2) | instskip(SKIP_1) | instid1(VALU_DEP_3)
	v_mul_hi_u32 v14, v5, v2
	v_mad_u64_u32 v[9:10], null, v6, v2, 0
	v_mad_u64_u32 v[7:8], null, v5, v13, 0
	;; [unrolled: 1-line block ×3, first 2 shown]
	s_delay_alu instid0(VALU_DEP_2) | instskip(NEXT) | instid1(VALU_DEP_3)
	v_add_co_u32 v2, vcc_lo, v14, v7
	v_add_co_ci_u32_e32 v7, vcc_lo, 0, v8, vcc_lo
	s_delay_alu instid0(VALU_DEP_2) | instskip(NEXT) | instid1(VALU_DEP_2)
	v_add_co_u32 v2, vcc_lo, v2, v9
	v_add_co_ci_u32_e32 v2, vcc_lo, v7, v10, vcc_lo
	v_add_co_ci_u32_e32 v7, vcc_lo, 0, v12, vcc_lo
	s_delay_alu instid0(VALU_DEP_2) | instskip(NEXT) | instid1(VALU_DEP_2)
	v_add_co_u32 v2, vcc_lo, v2, v11
	v_add_co_ci_u32_e32 v9, vcc_lo, 0, v7, vcc_lo
	s_delay_alu instid0(VALU_DEP_2) | instskip(SKIP_1) | instid1(VALU_DEP_3)
	v_mul_lo_u32 v10, s19, v2
	v_mad_u64_u32 v[7:8], null, s18, v2, 0
	v_mul_lo_u32 v11, s18, v9
	s_delay_alu instid0(VALU_DEP_2) | instskip(NEXT) | instid1(VALU_DEP_2)
	v_sub_co_u32 v7, vcc_lo, v5, v7
	v_add3_u32 v8, v8, v11, v10
	s_delay_alu instid0(VALU_DEP_1) | instskip(NEXT) | instid1(VALU_DEP_1)
	v_sub_nc_u32_e32 v10, v6, v8
	v_subrev_co_ci_u32_e64 v10, s2, s19, v10, vcc_lo
	v_add_co_u32 v11, s2, v2, 2
	s_delay_alu instid0(VALU_DEP_1) | instskip(SKIP_3) | instid1(VALU_DEP_3)
	v_add_co_ci_u32_e64 v12, s2, 0, v9, s2
	v_sub_co_u32 v13, s2, v7, s18
	v_sub_co_ci_u32_e32 v8, vcc_lo, v6, v8, vcc_lo
	v_subrev_co_ci_u32_e64 v10, s2, 0, v10, s2
	v_cmp_le_u32_e32 vcc_lo, s18, v13
	s_delay_alu instid0(VALU_DEP_3) | instskip(SKIP_1) | instid1(VALU_DEP_4)
	v_cmp_eq_u32_e64 s2, s19, v8
	v_cndmask_b32_e64 v13, 0, -1, vcc_lo
	v_cmp_le_u32_e32 vcc_lo, s19, v10
	v_cndmask_b32_e64 v14, 0, -1, vcc_lo
	v_cmp_le_u32_e32 vcc_lo, s18, v7
	;; [unrolled: 2-line block ×3, first 2 shown]
	v_cndmask_b32_e64 v15, 0, -1, vcc_lo
	v_cmp_eq_u32_e32 vcc_lo, s19, v10
	s_delay_alu instid0(VALU_DEP_2) | instskip(SKIP_3) | instid1(VALU_DEP_3)
	v_cndmask_b32_e64 v7, v15, v7, s2
	v_cndmask_b32_e32 v10, v14, v13, vcc_lo
	v_add_co_u32 v13, vcc_lo, v2, 1
	v_add_co_ci_u32_e32 v14, vcc_lo, 0, v9, vcc_lo
	v_cmp_ne_u32_e32 vcc_lo, 0, v10
	s_delay_alu instid0(VALU_DEP_2) | instskip(NEXT) | instid1(VALU_DEP_4)
	v_cndmask_b32_e32 v8, v14, v12, vcc_lo
	v_cndmask_b32_e32 v10, v13, v11, vcc_lo
	v_cmp_ne_u32_e32 vcc_lo, 0, v7
	s_delay_alu instid0(VALU_DEP_2)
	v_dual_cndmask_b32 v7, v2, v10 :: v_dual_cndmask_b32 v8, v9, v8
.LBB0_4:                                ;   in Loop: Header=BB0_2 Depth=1
	s_and_not1_saveexec_b32 s2, s3
	s_cbranch_execz .LBB0_6
; %bb.5:                                ;   in Loop: Header=BB0_2 Depth=1
	v_cvt_f32_u32_e32 v2, s18
	s_sub_i32 s3, 0, s18
	s_delay_alu instid0(VALU_DEP_1) | instskip(SKIP_2) | instid1(VALU_DEP_1)
	v_rcp_iflag_f32_e32 v2, v2
	s_waitcnt_depctr 0xfff
	v_mul_f32_e32 v2, 0x4f7ffffe, v2
	v_cvt_u32_f32_e32 v2, v2
	s_delay_alu instid0(VALU_DEP_1) | instskip(NEXT) | instid1(VALU_DEP_1)
	v_mul_lo_u32 v7, s3, v2
	v_mul_hi_u32 v7, v2, v7
	s_delay_alu instid0(VALU_DEP_1) | instskip(NEXT) | instid1(VALU_DEP_1)
	v_add_nc_u32_e32 v2, v2, v7
	v_mul_hi_u32 v2, v5, v2
	s_delay_alu instid0(VALU_DEP_1) | instskip(SKIP_1) | instid1(VALU_DEP_2)
	v_mul_lo_u32 v7, v2, s18
	v_add_nc_u32_e32 v8, 1, v2
	v_sub_nc_u32_e32 v7, v5, v7
	s_delay_alu instid0(VALU_DEP_1) | instskip(SKIP_1) | instid1(VALU_DEP_2)
	v_subrev_nc_u32_e32 v9, s18, v7
	v_cmp_le_u32_e32 vcc_lo, s18, v7
	v_dual_cndmask_b32 v7, v7, v9 :: v_dual_cndmask_b32 v2, v2, v8
	s_delay_alu instid0(VALU_DEP_1) | instskip(NEXT) | instid1(VALU_DEP_2)
	v_cmp_le_u32_e32 vcc_lo, s18, v7
	v_add_nc_u32_e32 v8, 1, v2
	s_delay_alu instid0(VALU_DEP_1)
	v_dual_cndmask_b32 v7, v2, v8 :: v_dual_mov_b32 v8, v1
.LBB0_6:                                ;   in Loop: Header=BB0_2 Depth=1
	s_or_b32 exec_lo, exec_lo, s2
	s_load_b64 s[2:3], s[12:13], 0x0
	s_delay_alu instid0(VALU_DEP_1) | instskip(NEXT) | instid1(VALU_DEP_2)
	v_mul_lo_u32 v2, v8, s18
	v_mul_lo_u32 v11, v7, s19
	v_mad_u64_u32 v[9:10], null, v7, s18, 0
	s_add_u32 s16, s16, 1
	s_addc_u32 s17, s17, 0
	s_add_u32 s12, s12, 8
	s_addc_u32 s13, s13, 0
	;; [unrolled: 2-line block ×3, first 2 shown]
	s_delay_alu instid0(VALU_DEP_1) | instskip(SKIP_1) | instid1(VALU_DEP_2)
	v_add3_u32 v2, v10, v11, v2
	v_sub_co_u32 v9, vcc_lo, v5, v9
	v_sub_co_ci_u32_e32 v2, vcc_lo, v6, v2, vcc_lo
	s_waitcnt lgkmcnt(0)
	s_delay_alu instid0(VALU_DEP_2) | instskip(NEXT) | instid1(VALU_DEP_2)
	v_mul_lo_u32 v10, s3, v9
	v_mul_lo_u32 v2, s2, v2
	v_mad_u64_u32 v[5:6], null, s2, v9, v[3:4]
	v_cmp_ge_u64_e64 s2, s[16:17], s[6:7]
	s_delay_alu instid0(VALU_DEP_1) | instskip(NEXT) | instid1(VALU_DEP_2)
	s_and_b32 vcc_lo, exec_lo, s2
	v_add3_u32 v4, v10, v6, v2
	s_delay_alu instid0(VALU_DEP_3)
	v_mov_b32_e32 v3, v5
	s_cbranch_vccnz .LBB0_9
; %bb.7:                                ;   in Loop: Header=BB0_2 Depth=1
	v_dual_mov_b32 v5, v7 :: v_dual_mov_b32 v6, v8
	s_branch .LBB0_2
.LBB0_8:
	v_dual_mov_b32 v8, v6 :: v_dual_mov_b32 v7, v5
.LBB0_9:
	s_lshl_b64 s[2:3], s[6:7], 3
	v_mul_hi_u32 v1, 0x4444445, v0
	s_add_u32 s2, s10, s2
	s_addc_u32 s3, s11, s3
	s_load_b64 s[0:1], s[0:1], 0x20
	s_load_b64 s[2:3], s[2:3], 0x0
	s_delay_alu instid0(VALU_DEP_1) | instskip(NEXT) | instid1(VALU_DEP_1)
	v_mul_u32_u24_e32 v1, 60, v1
	v_sub_nc_u32_e32 v172, v0, v1
	s_delay_alu instid0(VALU_DEP_1)
	v_add_nc_u32_e32 v183, 0x78, v172
	s_waitcnt lgkmcnt(0)
	v_cmp_gt_u64_e32 vcc_lo, s[0:1], v[7:8]
	v_mul_lo_u32 v2, s2, v8
	v_mul_lo_u32 v5, s3, v7
	v_mad_u64_u32 v[0:1], null, s2, v7, v[3:4]
	v_cmp_le_u64_e64 s0, s[0:1], v[7:8]
	v_add_nc_u32_e32 v3, 60, v172
	s_delay_alu instid0(VALU_DEP_3) | instskip(SKIP_3) | instid1(SALU_CYCLE_1)
	v_add3_u32 v1, v5, v1, v2
	v_add_nc_u32_e32 v2, 0xb4, v172
	scratch_store_b64 off, v[2:3], off      ; 8-byte Folded Spill
	s_and_saveexec_b32 s1, s0
	s_xor_b32 s0, exec_lo, s1
	s_cbranch_execz .LBB0_11
; %bb.10:
	v_add_nc_u32_e32 v3, 60, v172
	v_add_nc_u32_e32 v183, 0x78, v172
	;; [unrolled: 1-line block ×3, first 2 shown]
	scratch_store_b64 off, v[2:3], off      ; 8-byte Folded Spill
.LBB0_11:
	s_or_saveexec_b32 s1, s0
	v_lshlrev_b64 v[0:1], 4, v[0:1]
	v_lshl_add_u32 v232, v172, 4, 0
	scratch_store_b64 off, v[0:1], off offset:32 ; 8-byte Folded Spill
	v_or_b32_e32 v0, 0x3c0, v172
	s_clause 0x1
	scratch_store_b64 off, v[3:4], off offset:8
	scratch_store_b64 off, v[0:1], off offset:16
	v_or_b32_e32 v0, 0x780, v172
	scratch_store_b64 off, v[0:1], off offset:24 ; 8-byte Folded Spill
	s_xor_b32 exec_lo, exec_lo, s1
	s_cbranch_execz .LBB0_13
; %bb.12:
	s_clause 0x1
	scratch_load_b64 v[2:3], off, off offset:32
	scratch_load_b64 v[36:37], off, off offset:16
	v_mov_b32_e32 v173, 0
	s_waitcnt vmcnt(1)
	v_add_co_u32 v66, s0, s8, v2
	s_waitcnt vmcnt(0)
	v_mov_b32_e32 v38, v36
	v_lshlrev_b64 v[0:1], 4, v[172:173]
	v_add_co_ci_u32_e64 v67, s0, s9, v3, s0
	v_mov_b32_e32 v37, v173
	s_delay_alu instid0(VALU_DEP_3) | instskip(NEXT) | instid1(VALU_DEP_1)
	v_add_co_u32 v136, s0, v66, v0
	v_add_co_ci_u32_e64 v137, s0, v67, v1, s0
	s_clause 0x2
	global_load_b128 v[0:3], v[136:137], off offset:960
	global_load_b128 v[4:7], v[136:137], off offset:1920
	;; [unrolled: 1-line block ×3, first 2 shown]
	v_add_co_u32 v28, s0, 0x1000, v136
	s_delay_alu instid0(VALU_DEP_1) | instskip(SKIP_1) | instid1(VALU_DEP_1)
	v_add_co_ci_u32_e64 v29, s0, 0, v137, s0
	v_add_co_u32 v44, s0, 0x2000, v136
	v_add_co_ci_u32_e64 v45, s0, 0, v137, s0
	v_add_co_u32 v64, s0, 0x3000, v136
	s_delay_alu instid0(VALU_DEP_1)
	v_add_co_ci_u32_e64 v65, s0, 0, v137, s0
	s_clause 0x5
	global_load_b128 v[12:15], v[136:137], off offset:3840
	global_load_b128 v[16:19], v[28:29], off offset:704
	;; [unrolled: 1-line block ×6, first 2 shown]
	scratch_store_b64 off, v[38:39], off offset:16 ; 8-byte Folded Spill
	v_lshlrev_b64 v[52:53], 4, v[36:37]
	s_clause 0x3
	global_load_b128 v[36:39], v[44:45], off offset:1408
	global_load_b128 v[40:43], v[44:45], off offset:2368
	global_load_b128 v[44:47], v[44:45], off offset:3328
	global_load_b128 v[48:51], v[64:65], off offset:192
	scratch_load_b64 v[62:63], off, off offset:24 ; 8-byte Folded Reload
	s_waitcnt vmcnt(0)
	v_mov_b32_e32 v63, v173
	v_add_co_u32 v60, s0, v66, v52
	s_delay_alu instid0(VALU_DEP_1) | instskip(SKIP_1) | instid1(VALU_DEP_1)
	v_add_co_ci_u32_e64 v61, s0, v67, v53, s0
	v_add_co_u32 v80, s0, 0x4000, v136
	v_add_co_ci_u32_e64 v81, s0, 0, v137, s0
	v_add_co_u32 v96, s0, 0x5000, v136
	s_delay_alu instid0(VALU_DEP_1) | instskip(SKIP_1) | instid1(VALU_DEP_1)
	v_add_co_ci_u32_e64 v97, s0, 0, v137, s0
	v_add_co_u32 v112, s0, 0x6000, v136
	v_add_co_ci_u32_e64 v113, s0, 0, v137, s0
	v_add_co_u32 v132, s0, 0x7000, v136
	s_delay_alu instid0(VALU_DEP_1)
	v_add_co_ci_u32_e64 v133, s0, 0, v137, s0
	s_clause 0x1
	global_load_b128 v[52:55], v[64:65], off offset:1152
	global_load_b128 v[56:59], v[64:65], off offset:2112
	v_mov_b32_e32 v68, v62
	v_lshlrev_b64 v[62:63], 4, v[62:63]
	scratch_store_b64 off, v[68:69], off offset:24 ; 8-byte Folded Spill
	v_add_co_u32 v124, s0, v66, v62
	s_delay_alu instid0(VALU_DEP_1) | instskip(SKIP_1) | instid1(VALU_DEP_1)
	v_add_co_ci_u32_e64 v125, s0, v67, v63, s0
	v_add_co_u32 v140, s0, 0x8000, v136
	v_add_co_ci_u32_e64 v141, s0, 0, v137, s0
	s_clause 0x14
	global_load_b128 v[60:63], v[60:61], off
	global_load_b128 v[64:67], v[64:65], off offset:4032
	global_load_b128 v[68:71], v[80:81], off offset:896
	;; [unrolled: 1-line block ×15, first 2 shown]
	global_load_b128 v[124:127], v[124:125], off
	global_load_b128 v[128:131], v[132:133], off offset:3008
	global_load_b128 v[132:135], v[132:133], off offset:3968
	global_load_b128 v[136:139], v[136:137], off
	global_load_b128 v[140:143], v[140:141], off offset:832
	ds_store_b128 v232, v[0:3] offset:960
	ds_store_b128 v232, v[4:7] offset:1920
	;; [unrolled: 1-line block ×13, first 2 shown]
	s_waitcnt vmcnt(22)
	ds_store_b128 v232, v[52:55] offset:13440
	s_waitcnt vmcnt(21)
	ds_store_b128 v232, v[56:59] offset:14400
	s_waitcnt vmcnt(20)
	ds_store_b128 v232, v[60:63] offset:15360
	s_waitcnt vmcnt(19)
	ds_store_b128 v232, v[64:67] offset:16320
	s_waitcnt vmcnt(18)
	ds_store_b128 v232, v[68:71] offset:17280
	s_waitcnt vmcnt(17)
	ds_store_b128 v232, v[72:75] offset:18240
	s_waitcnt vmcnt(16)
	ds_store_b128 v232, v[76:79] offset:19200
	s_waitcnt vmcnt(15)
	ds_store_b128 v232, v[80:83] offset:20160
	s_waitcnt vmcnt(14)
	ds_store_b128 v232, v[84:87] offset:21120
	s_waitcnt vmcnt(13)
	ds_store_b128 v232, v[88:91] offset:22080
	s_waitcnt vmcnt(12)
	ds_store_b128 v232, v[92:95] offset:23040
	s_waitcnt vmcnt(11)
	ds_store_b128 v232, v[96:99] offset:24000
	s_waitcnt vmcnt(10)
	ds_store_b128 v232, v[100:103] offset:24960
	s_waitcnt vmcnt(9)
	ds_store_b128 v232, v[104:107] offset:25920
	s_waitcnt vmcnt(8)
	ds_store_b128 v232, v[108:111] offset:26880
	s_waitcnt vmcnt(7)
	ds_store_b128 v232, v[112:115] offset:27840
	s_waitcnt vmcnt(6)
	ds_store_b128 v232, v[116:119] offset:28800
	s_waitcnt vmcnt(5)
	ds_store_b128 v232, v[120:123] offset:29760
	s_waitcnt vmcnt(4)
	ds_store_b128 v232, v[124:127] offset:30720
	s_waitcnt vmcnt(3)
	ds_store_b128 v232, v[128:131] offset:31680
	s_waitcnt vmcnt(2)
	ds_store_b128 v232, v[132:135] offset:32640
	s_waitcnt vmcnt(1)
	ds_store_b128 v232, v[136:139]
	s_waitcnt vmcnt(0)
	ds_store_b128 v232, v[140:143] offset:33600
.LBB0_13:
	s_or_b32 exec_lo, exec_lo, s1
	s_waitcnt lgkmcnt(0)
	s_waitcnt_vscnt null, 0x0
	s_barrier
	buffer_gl0_inv
	ds_load_b128 v[20:23], v232 offset:6912
	ds_load_b128 v[0:3], v232
	ds_load_b128 v[16:19], v232 offset:10368
	ds_load_b128 v[8:11], v232 offset:3456
	;; [unrolled: 1-line block ×13, first 2 shown]
	s_mov_b32 s2, 0x134454ff
	s_mov_b32 s3, 0x3fee6f0e
	;; [unrolled: 1-line block ×10, first 2 shown]
	s_waitcnt lgkmcnt(13)
	v_add_f64 v[24:25], v[0:1], v[20:21]
	v_add_f64 v[26:27], v[2:3], v[22:23]
	s_waitcnt lgkmcnt(11)
	v_add_f64 v[28:29], v[8:9], v[16:17]
	v_add_f64 v[30:31], v[10:11], v[18:19]
	;; [unrolled: 3-line block ×3, first 2 shown]
	s_waitcnt lgkmcnt(7)
	v_add_f64 v[100:101], v[36:37], v[32:33]
	s_waitcnt lgkmcnt(2)
	v_add_f64 v[194:195], v[32:33], -v[48:49]
	v_add_f64 v[210:211], v[48:49], -v[32:33]
	s_waitcnt lgkmcnt(1)
	v_add_f64 v[120:121], v[52:53], v[80:81]
	v_add_f64 v[122:123], v[18:19], v[46:47]
	;; [unrolled: 1-line block ×4, first 2 shown]
	v_add_f64 v[130:131], v[18:19], -v[46:47]
	v_add_f64 v[132:133], v[54:55], -v[82:83]
	v_add_f64 v[134:135], v[52:53], -v[80:81]
	v_add_f64 v[146:147], v[16:17], -v[44:45]
	v_add_f64 v[150:151], v[20:21], -v[56:57]
	v_add_f64 v[154:155], v[56:57], -v[20:21]
	v_add_f64 v[160:161], v[46:47], -v[82:83]
	v_add_f64 v[186:187], v[12:13], -v[40:41]
	v_add_f64 v[106:107], v[38:39], v[34:35]
	s_mov_b32 s16, 0x9b97f4a8
	s_mov_b32 s17, 0x3fe9e377
	s_waitcnt lgkmcnt(0)
	v_add_f64 v[128:129], v[48:49], v[60:61]
	v_add_f64 v[218:219], v[48:49], -v[60:61]
	v_add_f64 v[170:171], v[50:51], v[62:63]
	v_add_f64 v[212:213], v[34:35], -v[50:51]
	v_add_f64 v[214:215], v[50:51], -v[34:35]
	s_mov_b32 s1, exec_lo
	v_add_f64 v[92:93], v[24:25], v[56:57]
	v_add_f64 v[94:95], v[26:27], v[58:59]
	v_add_f64 v[102:103], v[28:29], v[52:53]
	v_add_f64 v[104:105], v[30:31], v[54:55]
	ds_load_b128 v[88:91], v232 offset:20736
	ds_load_b128 v[84:87], v232 offset:27648
	;; [unrolled: 1-line block ×11, first 2 shown]
	v_add_f64 v[96:97], v[96:97], v[40:41]
	v_add_f64 v[98:99], v[98:99], v[42:43]
	v_add_f64 v[100:101], v[100:101], v[48:49]
	ds_load_b128 v[235:238], v232 offset:2880
	s_waitcnt lgkmcnt(11)
	v_add_f64 v[136:137], v[56:57], v[88:89]
	s_waitcnt lgkmcnt(10)
	v_add_f64 v[138:139], v[20:21], v[84:85]
	v_add_f64 v[140:141], v[58:59], v[90:91]
	;; [unrolled: 1-line block ×3, first 2 shown]
	s_waitcnt lgkmcnt(7)
	v_add_f64 v[177:178], v[32:33], v[64:65]
	v_add_f64 v[196:197], v[32:33], -v[64:65]
	s_waitcnt lgkmcnt(5)
	v_add_f64 v[32:33], v[76:77], v[108:109]
	v_add_f64 v[144:145], v[22:23], -v[86:87]
	v_add_f64 v[148:149], v[58:59], -v[90:91]
	;; [unrolled: 1-line block ×9, first 2 shown]
	v_add_f64 v[164:165], v[12:13], v[68:69]
	v_add_f64 v[168:169], v[14:15], v[70:71]
	v_add_f64 v[188:189], v[12:13], -v[68:69]
	s_waitcnt lgkmcnt(2)
	v_add_f64 v[192:193], v[112:113], v[116:117]
	v_add_f64 v[106:107], v[106:107], v[50:51]
	;; [unrolled: 1-line block ×3, first 2 shown]
	v_add_f64 v[190:191], v[42:43], -v[74:75]
	v_add_f64 v[162:163], v[40:41], v[72:73]
	v_add_f64 v[92:93], v[92:93], v[88:89]
	;; [unrolled: 1-line block ×5, first 2 shown]
	v_add_f64 v[88:89], v[90:91], -v[86:87]
	v_add_f64 v[90:91], v[16:17], -v[52:53]
	;; [unrolled: 1-line block ×10, first 2 shown]
	v_fma_f64 v[136:137], v[136:137], -0.5, v[0:1]
	v_fma_f64 v[138:139], v[138:139], -0.5, v[0:1]
	;; [unrolled: 1-line block ×4, first 2 shown]
	v_add_f64 v[233:234], v[114:115], -v[118:119]
	v_add_f64 v[241:242], v[78:79], -v[110:111]
	;; [unrolled: 1-line block ×4, first 2 shown]
	v_add_f64 v[184:185], v[34:35], v[66:67]
	v_add_f64 v[150:151], v[150:151], v[152:153]
	v_add_f64 v[216:217], v[66:67], -v[62:63]
	v_add_f64 v[222:223], v[62:63], -v[66:67]
	;; [unrolled: 1-line block ×5, first 2 shown]
	v_add_f64 v[152:153], v[20:21], v[56:57]
	v_fma_f64 v[164:165], v[164:165], -0.5, v[4:5]
	v_fma_f64 v[168:169], v[168:169], -0.5, v[6:7]
	v_add_f64 v[204:205], v[70:71], -v[74:75]
	v_add_f64 v[206:207], v[74:75], -v[70:71]
	;; [unrolled: 1-line block ×3, first 2 shown]
	v_fma_f64 v[166:167], v[166:167], -0.5, v[6:7]
	v_add_f64 v[220:221], v[60:61], -v[64:65]
	v_fma_f64 v[162:163], v[162:163], -0.5, v[4:5]
	v_add_f64 v[84:85], v[92:93], v[84:85]
	v_add_f64 v[86:87], v[94:95], v[86:87]
	v_add_f64 v[92:93], v[40:41], -v[12:13]
	v_add_f64 v[94:95], v[96:97], v[72:73]
	v_add_f64 v[96:97], v[98:99], v[74:75]
	v_add_f64 v[98:99], v[14:15], -v[42:43]
	;; [unrolled: 3-line block ×3, first 2 shown]
	v_add_f64 v[104:105], v[14:15], -v[70:71]
	ds_load_b128 v[12:15], v232 offset:1920
	v_add_f64 v[42:43], v[100:101], v[60:61]
	v_add_f64 v[100:101], v[106:107], v[62:63]
	v_fma_f64 v[106:107], v[120:121], -0.5, v[8:9]
	v_fma_f64 v[120:121], v[122:123], -0.5, v[10:11]
	;; [unrolled: 1-line block ×4, first 2 shown]
	v_add_f64 v[8:9], v[76:77], -v[112:113]
	ds_load_b128 v[4:7], v232 offset:9792
	ds_load_b128 v[0:3], v232 offset:30528
	v_add_f64 v[126:127], v[50:51], -v[62:63]
	v_fma_f64 v[34:35], v[158:159], s[2:3], v[142:143]
	v_add_f64 v[239:240], v[78:79], -v[114:115]
	v_fma_f64 v[128:129], v[128:129], -0.5, v[36:37]
	v_fma_f64 v[170:171], v[170:171], -0.5, v[38:39]
	;; [unrolled: 1-line block ×4, first 2 shown]
	s_waitcnt lgkmcnt(2)
	v_fma_f64 v[226:227], v[32:33], -0.5, v[12:13]
	v_add_f64 v[32:33], v[114:115], v[118:119]
	v_fma_f64 v[192:193], v[192:193], -0.5, v[12:13]
	v_add_f64 v[12:13], v[12:13], v[76:77]
	v_add_f64 v[92:93], v[92:93], v[202:203]
	;; [unrolled: 1-line block ×5, first 2 shown]
	v_add_f64 v[44:45], v[84:85], -v[44:45]
	v_add_f64 v[224:225], v[42:43], v[64:65]
	v_add_f64 v[100:101], v[100:101], v[66:67]
	;; [unrolled: 1-line block ×3, first 2 shown]
	v_add_f64 v[46:47], v[86:87], -v[46:47]
	scratch_store_b64 off, v[8:9], off offset:48 ; 8-byte Folded Spill
	v_add_f64 v[8:9], v[112:113], -v[76:77]
	v_fma_f64 v[34:35], v[156:157], s[14:15], v[34:35]
	v_fma_f64 v[228:229], v[32:33], -0.5, v[14:15]
	v_add_f64 v[32:33], v[78:79], v[110:111]
	v_add_f64 v[12:13], v[12:13], v[112:113]
	v_add_f64 v[112:113], v[112:113], -v[116:117]
	scratch_store_b64 off, v[8:9], off offset:40 ; 8-byte Folded Spill
	v_fma_f64 v[230:231], v[32:33], -0.5, v[14:15]
	v_add_f64 v[14:15], v[14:15], v[78:79]
	v_add_f64 v[12:13], v[12:13], v[116:117]
	v_add_f64 v[116:117], v[116:117], -v[108:109]
	v_fma_f64 v[32:33], v[156:157], s[12:13], v[140:141]
	s_delay_alu instid0(VALU_DEP_4) | instskip(NEXT) | instid1(VALU_DEP_4)
	v_add_f64 v[14:15], v[14:15], v[114:115]
	v_add_f64 v[249:250], v[12:13], v[108:109]
	v_fma_f64 v[12:13], v[130:131], s[2:3], v[106:107]
	v_add_f64 v[108:109], v[90:91], v[54:55]
	v_fma_f64 v[32:33], v[158:159], s[14:15], v[32:33]
	v_add_f64 v[114:115], v[114:115], -v[78:79]
	v_add_f64 v[14:15], v[14:15], v[118:119]
	v_add_f64 v[118:119], v[118:119], -v[110:111]
	v_fma_f64 v[12:13], v[132:133], s[6:7], v[12:13]
	v_fma_f64 v[32:33], v[152:153], s[10:11], v[32:33]
	s_delay_alu instid0(VALU_DEP_4)
	v_add_f64 v[251:252], v[14:15], v[110:111]
	v_fma_f64 v[14:15], v[146:147], s[12:13], v[124:125]
	v_add_f64 v[110:111], v[52:53], v[160:161]
	v_fma_f64 v[12:13], v[108:109], s[10:11], v[12:13]
	;; [unrolled: 2-line block ×3, first 2 shown]
	v_fma_f64 v[14:15], v[134:135], s[14:15], v[14:15]
	s_delay_alu instid0(VALU_DEP_4) | instskip(SKIP_1) | instid1(VALU_DEP_4)
	v_mul_f64 v[20:21], v[12:13], s[16:17]
	v_mul_f64 v[12:13], v[12:13], s[14:15]
	v_fma_f64 v[118:119], v[233:234], s[6:7], v[118:119]
	s_delay_alu instid0(VALU_DEP_4) | instskip(NEXT) | instid1(VALU_DEP_1)
	v_fma_f64 v[14:15], v[110:111], s[10:11], v[14:15]
	v_fma_f64 v[20:21], v[14:15], s[6:7], v[20:21]
	s_delay_alu instid0(VALU_DEP_4) | instskip(SKIP_1) | instid1(VALU_DEP_2)
	v_fma_f64 v[12:13], v[14:15], s[16:17], v[12:13]
	v_fma_f64 v[14:15], v[144:145], s[2:3], v[136:137]
	v_add_f64 v[50:51], v[32:33], v[12:13]
	s_delay_alu instid0(VALU_DEP_2) | instskip(SKIP_3) | instid1(VALU_DEP_4)
	v_fma_f64 v[14:15], v[148:149], s[6:7], v[14:15]
	v_add_f64 v[54:55], v[32:33], -v[12:13]
	v_add_f64 v[12:13], v[16:17], v[80:81]
	v_add_f64 v[16:17], v[154:155], v[58:59]
	v_fma_f64 v[14:15], v[150:151], s[10:11], v[14:15]
	s_delay_alu instid0(VALU_DEP_1)
	v_add_f64 v[48:49], v[14:15], v[20:21]
	v_add_f64 v[52:53], v[14:15], -v[20:21]
	v_fma_f64 v[20:21], v[134:135], s[2:3], v[120:121]
	v_add_f64 v[14:15], v[18:19], v[82:83]
	v_add_f64 v[18:19], v[22:23], v[88:89]
	v_fma_f64 v[22:23], v[132:133], s[12:13], v[122:123]
	s_delay_alu instid0(VALU_DEP_4) | instskip(NEXT) | instid1(VALU_DEP_3)
	v_fma_f64 v[20:21], v[146:147], s[14:15], v[20:21]
	v_fma_f64 v[34:35], v[18:19], s[10:11], v[34:35]
	s_delay_alu instid0(VALU_DEP_3) | instskip(NEXT) | instid1(VALU_DEP_3)
	v_fma_f64 v[22:23], v[130:131], s[6:7], v[22:23]
	v_fma_f64 v[20:21], v[14:15], s[10:11], v[20:21]
	s_delay_alu instid0(VALU_DEP_2) | instskip(NEXT) | instid1(VALU_DEP_2)
	v_fma_f64 v[22:23], v[12:13], s[10:11], v[22:23]
	v_mul_f64 v[32:33], v[20:21], s[2:3]
	s_delay_alu instid0(VALU_DEP_1) | instskip(SKIP_1) | instid1(VALU_DEP_1)
	v_fma_f64 v[32:33], v[22:23], s[10:11], v[32:33]
	v_mul_f64 v[22:23], v[22:23], s[12:13]
	v_fma_f64 v[20:21], v[20:21], s[10:11], v[22:23]
	v_fma_f64 v[22:23], v[148:149], s[12:13], v[138:139]
	s_delay_alu instid0(VALU_DEP_2) | instskip(SKIP_2) | instid1(VALU_DEP_4)
	v_add_f64 v[58:59], v[34:35], v[20:21]
	v_add_f64 v[62:63], v[34:35], -v[20:21]
	v_fma_f64 v[20:21], v[132:133], s[2:3], v[122:123]
	v_fma_f64 v[22:23], v[144:145], s[6:7], v[22:23]
	s_delay_alu instid0(VALU_DEP_2) | instskip(NEXT) | instid1(VALU_DEP_2)
	v_fma_f64 v[20:21], v[130:131], s[14:15], v[20:21]
	v_fma_f64 v[22:23], v[16:17], s[10:11], v[22:23]
	s_delay_alu instid0(VALU_DEP_2) | instskip(SKIP_1) | instid1(VALU_DEP_3)
	v_fma_f64 v[12:13], v[12:13], s[10:11], v[20:21]
	v_fma_f64 v[20:21], v[134:135], s[12:13], v[120:121]
	v_add_f64 v[56:57], v[22:23], v[32:33]
	v_add_f64 v[60:61], v[22:23], -v[32:33]
	s_delay_alu instid0(VALU_DEP_3) | instskip(NEXT) | instid1(VALU_DEP_1)
	v_fma_f64 v[20:21], v[146:147], s[6:7], v[20:21]
	v_fma_f64 v[14:15], v[14:15], s[10:11], v[20:21]
	v_fma_f64 v[20:21], v[148:149], s[2:3], v[138:139]
	s_delay_alu instid0(VALU_DEP_1) | instskip(NEXT) | instid1(VALU_DEP_1)
	v_fma_f64 v[20:21], v[144:145], s[14:15], v[20:21]
	v_fma_f64 v[16:17], v[16:17], s[10:11], v[20:21]
	;; [unrolled: 1-line block ×3, first 2 shown]
	s_delay_alu instid0(VALU_DEP_1) | instskip(NEXT) | instid1(VALU_DEP_1)
	v_fma_f64 v[20:21], v[156:157], s[6:7], v[20:21]
	v_fma_f64 v[18:19], v[18:19], s[10:11], v[20:21]
	v_mul_f64 v[20:21], v[12:13], s[10:11]
	s_delay_alu instid0(VALU_DEP_1) | instskip(SKIP_1) | instid1(VALU_DEP_2)
	v_fma_f64 v[20:21], v[14:15], s[2:3], -v[20:21]
	v_mul_f64 v[14:15], v[14:15], s[10:11]
	v_add_f64 v[64:65], v[16:17], v[20:21]
	s_delay_alu instid0(VALU_DEP_2) | instskip(SKIP_1) | instid1(VALU_DEP_2)
	v_fma_f64 v[12:13], v[12:13], s[12:13], -v[14:15]
	v_add_f64 v[68:69], v[16:17], -v[20:21]
	v_add_f64 v[66:67], v[18:19], v[12:13]
	v_add_f64 v[70:71], v[18:19], -v[12:13]
	ds_load_b128 v[72:75], v232 offset:33024
	ds_load_b128 v[76:79], v232 offset:12288
	;; [unrolled: 1-line block ×6, first 2 shown]
	s_waitcnt lgkmcnt(4)
	v_add_f64 v[16:17], v[76:77], v[72:73]
	v_add_f64 v[142:143], v[78:79], v[74:75]
	s_waitcnt lgkmcnt(1)
	s_delay_alu instid0(VALU_DEP_2)
	v_fma_f64 v[120:121], v[16:17], -0.5, v[80:81]
	ds_load_b128 v[84:87], v232 offset:26112
	ds_load_b128 v[88:91], v232 offset:19200
	;; [unrolled: 1-line block ×4, first 2 shown]
	v_fma_f64 v[142:143], v[142:143], -0.5, v[82:83]
	s_waitcnt lgkmcnt(3)
	v_add_f64 v[181:182], v[72:73], -v[84:85]
	s_waitcnt lgkmcnt(2)
	v_add_f64 v[122:123], v[88:89], v[84:85]
	v_add_f64 v[138:139], v[90:91], v[86:87]
	v_add_f64 v[154:155], v[90:91], -v[86:87]
	v_add_f64 v[160:161], v[76:77], -v[88:89]
	;; [unrolled: 1-line block ×5, first 2 shown]
	v_fma_f64 v[122:123], v[122:123], -0.5, v[80:81]
	v_fma_f64 v[138:139], v[138:139], -0.5, v[82:83]
	v_add_f64 v[80:81], v[80:81], v[76:77]
	v_add_f64 v[82:83], v[82:83], v[78:79]
	v_add_f64 v[76:77], v[76:77], -v[72:73]
	s_delay_alu instid0(VALU_DEP_3) | instskip(NEXT) | instid1(VALU_DEP_3)
	v_add_f64 v[80:81], v[80:81], v[88:89]
	v_add_f64 v[82:83], v[82:83], v[90:91]
	v_add_f64 v[88:89], v[88:89], -v[84:85]
	v_add_f64 v[90:91], v[90:91], -v[78:79]
	;; [unrolled: 1-line block ×3, first 2 shown]
	v_add_f64 v[80:81], v[80:81], v[84:85]
	v_add_f64 v[82:83], v[82:83], v[86:87]
	v_add_f64 v[84:85], v[84:85], -v[72:73]
	v_add_f64 v[86:87], v[74:75], -v[86:87]
	v_add_f64 v[90:91], v[90:91], v[173:174]
	v_add_f64 v[8:9], v[80:81], v[72:73]
	;; [unrolled: 1-line block ×3, first 2 shown]
	v_fma_f64 v[72:73], v[130:131], s[12:13], v[106:107]
	v_fma_f64 v[74:75], v[146:147], s[2:3], v[124:125]
	;; [unrolled: 1-line block ×4, first 2 shown]
	v_add_f64 v[106:107], v[194:195], v[208:209]
	v_fma_f64 v[144:145], v[196:197], s[12:13], v[170:171]
	v_fma_f64 v[136:137], v[218:219], s[2:3], v[184:185]
	;; [unrolled: 1-line block ×4, first 2 shown]
	v_add_f64 v[84:85], v[253:254], v[84:85]
	v_add_f64 v[86:87], v[179:180], v[86:87]
	v_fma_f64 v[156:157], v[233:234], s[2:3], v[226:227]
	v_fma_f64 v[72:73], v[132:133], s[14:15], v[72:73]
	;; [unrolled: 1-line block ×15, first 2 shown]
	v_add_f64 v[110:111], v[210:211], v[220:221]
	v_fma_f64 v[132:133], v[175:176], s[6:7], v[132:133]
	v_fma_f64 v[134:135], v[175:176], s[14:15], v[134:135]
	v_add_f64 v[108:109], v[212:213], v[216:217]
	v_fma_f64 v[80:81], v[150:151], s[10:11], v[80:81]
	v_fma_f64 v[148:149], v[78:79], s[6:7], v[148:149]
	;; [unrolled: 1-line block ×11, first 2 shown]
	v_mul_f64 v[124:125], v[72:73], s[16:17]
	v_fma_f64 v[132:133], v[110:111], s[10:11], v[132:133]
	v_fma_f64 v[110:111], v[110:111], s[10:11], v[134:135]
	;; [unrolled: 1-line block ×9, first 2 shown]
	v_add_f64 v[154:155], v[239:240], v[247:248]
	v_fma_f64 v[124:125], v[74:75], s[6:7], -v[124:125]
	v_mul_f64 v[74:75], v[74:75], s[16:17]
	v_fma_f64 v[134:135], v[126:127], s[6:7], v[134:135]
	v_fma_f64 v[126:127], v[126:127], s[14:15], v[128:129]
	;; [unrolled: 1-line block ×4, first 2 shown]
	v_add_f64 v[146:147], v[160:161], v[181:182]
	v_fma_f64 v[160:161], v[112:113], s[2:3], v[230:231]
	v_fma_f64 v[76:77], v[90:91], s[10:11], v[76:77]
	v_fma_f64 v[130:131], v[72:73], s[14:15], -v[74:75]
	v_add_f64 v[74:75], v[98:99], v[204:205]
	v_add_f64 v[98:99], v[102:103], v[206:207]
	;; [unrolled: 1-line block ×3, first 2 shown]
	v_fma_f64 v[134:135], v[106:107], s[10:11], v[134:135]
	v_fma_f64 v[106:107], v[106:107], s[10:11], v[126:127]
	;; [unrolled: 1-line block ×8, first 2 shown]
	scratch_load_b64 v[152:153], off, off offset:48 ; 8-byte Folded Reload
	v_add_f64 v[72:73], v[186:187], v[200:201]
	v_fma_f64 v[160:161], v[243:244], s[14:15], v[160:161]
	v_mul_f64 v[150:151], v[134:135], s[16:17]
	v_mul_f64 v[134:135], v[134:135], s[14:15]
	v_fma_f64 v[126:127], v[86:87], s[10:11], v[126:127]
	v_fma_f64 v[86:87], v[86:87], s[10:11], v[88:89]
	scratch_load_b64 v[88:89], off, off offset:40 ; 8-byte Folded Reload
	s_waitcnt vmcnt(0) lgkmcnt(0)
	s_waitcnt_vscnt null, 0x0
	v_fma_f64 v[144:145], v[188:189], s[6:7], v[144:145]
	s_barrier
	buffer_gl0_inv
	v_fma_f64 v[160:161], v[114:115], s[10:11], v[160:161]
	v_fma_f64 v[150:151], v[128:129], s[6:7], v[150:151]
	;; [unrolled: 1-line block ×20, first 2 shown]
	v_mul_f64 v[168:169], v[134:135], s[2:3]
	v_fma_f64 v[140:141], v[190:191], s[6:7], v[140:141]
	v_fma_f64 v[142:143], v[190:191], s[14:15], v[142:143]
	;; [unrolled: 1-line block ×5, first 2 shown]
	v_mul_f64 v[166:167], v[110:111], s[10:11]
	v_fma_f64 v[148:149], v[198:199], s[6:7], v[148:149]
	v_fma_f64 v[162:163], v[243:244], s[6:7], v[162:163]
	;; [unrolled: 1-line block ×6, first 2 shown]
	v_mul_f64 v[132:133], v[132:133], s[12:13]
	v_fma_f64 v[140:141], v[72:73], s[10:11], v[140:141]
	v_fma_f64 v[142:143], v[72:73], s[10:11], v[142:143]
	v_mul_f64 v[72:73], v[136:137], s[12:13]
	v_mul_f64 v[92:93], v[106:107], s[16:17]
	v_fma_f64 v[146:147], v[74:75], s[10:11], v[146:147]
	v_fma_f64 v[148:149], v[74:75], s[10:11], v[148:149]
	v_mul_f64 v[74:75], v[78:79], s[10:11]
	v_fma_f64 v[162:163], v[114:115], s[10:11], v[162:163]
	v_fma_f64 v[188:189], v[154:155], s[10:11], v[112:113]
	;; [unrolled: 1-line block ×5, first 2 shown]
	v_mul_f64 v[134:135], v[102:103], s[10:11]
	v_fma_f64 v[144:145], v[102:103], s[2:3], -v[166:167]
	v_mul_f64 v[102:103], v[90:91], s[16:17]
	v_mul_f64 v[90:91], v[90:91], s[14:15]
	;; [unrolled: 1-line block ×3, first 2 shown]
	v_fma_f64 v[181:182], v[84:85], s[10:11], v[72:73]
	v_fma_f64 v[166:167], v[108:109], s[6:7], -v[92:93]
	v_mul_f64 v[92:93], v[76:77], s[10:11]
	v_add_f64 v[72:73], v[80:81], v[124:125]
	v_fma_f64 v[184:185], v[76:77], s[2:3], -v[74:75]
	v_add_f64 v[76:77], v[80:81], -v[124:125]
	v_add_f64 v[124:125], v[249:250], -v[8:9]
	v_add_f64 v[74:75], v[82:83], v[130:131]
	v_add_f64 v[80:81], v[94:95], v[224:225]
	v_fma_f64 v[110:111], v[110:111], s[12:13], -v[134:135]
	v_mul_f64 v[134:135], v[84:85], s[2:3]
	v_fma_f64 v[175:176], v[86:87], s[6:7], v[102:103]
	v_fma_f64 v[177:178], v[86:87], s[16:17], v[90:91]
	v_mul_f64 v[86:87], v[126:127], s[16:17]
	v_mul_u32_u24_e32 v84, 10, v172
	v_fma_f64 v[173:174], v[106:107], s[14:15], -v[98:99]
	v_mul_f64 v[98:99], v[120:121], s[16:17]
	v_fma_f64 v[186:187], v[78:79], s[12:13], -v[92:93]
	v_add_f64 v[78:79], v[82:83], -v[130:131]
	v_lshl_add_u32 v194, v84, 4, 0
	ds_store_b128 v194, v[40:43]
	ds_store_b128 v194, v[48:51] offset:16
	v_add_f64 v[82:83], v[96:97], v[100:101]
	v_add_f64 v[84:85], v[94:95], -v[224:225]
	v_add_f64 v[92:93], v[140:141], -v[150:151]
	;; [unrolled: 1-line block ×5, first 2 shown]
	v_add_f64 v[112:113], v[142:143], v[166:167]
	v_add_f64 v[90:91], v[146:147], v[128:129]
	v_add_f64 v[106:107], v[138:139], v[110:111]
	v_fma_f64 v[179:180], v[136:137], s[10:11], v[134:135]
	v_fma_f64 v[136:137], v[154:155], s[10:11], v[164:165]
	v_add_f64 v[110:111], v[138:139], -v[110:111]
	v_fma_f64 v[192:193], v[120:121], s[14:15], -v[86:87]
	v_add_f64 v[120:121], v[249:250], v[8:9]
	scratch_load_b64 v[8:9], off, off offset:8 ; 8-byte Folded Reload
	v_fma_f64 v[190:191], v[126:127], s[6:7], -v[98:99]
	v_add_f64 v[86:87], v[96:97], -v[100:101]
	v_add_f64 v[96:97], v[122:123], v[168:169]
	v_add_f64 v[98:99], v[104:105], v[132:133]
	v_add_f64 v[100:101], v[122:123], -v[168:169]
	v_add_f64 v[104:105], v[170:171], v[144:145]
	v_add_f64 v[114:115], v[148:149], v[173:174]
	;; [unrolled: 1-line block ×4, first 2 shown]
	v_add_f64 v[126:127], v[251:252], -v[10:11]
	v_add_f64 v[154:155], v[162:163], -v[186:187]
	s_waitcnt vmcnt(0)
	v_mul_i32_i24_e32 v9, 10, v183
	ds_store_b128 v194, v[56:59] offset:32
	ds_store_b128 v194, v[64:67] offset:48
	;; [unrolled: 1-line block ×4, first 2 shown]
	v_lshl_add_u32 v9, v9, 4, 0
	v_add_f64 v[130:131], v[136:137], v[177:178]
	v_add_f64 v[146:147], v[188:189], v[192:193]
	;; [unrolled: 1-line block ×4, first 2 shown]
	v_fma_f64 v[116:117], v[233:234], s[12:13], v[226:227]
	s_delay_alu instid0(VALU_DEP_3)
	v_fma_f64 v[134:135], v[152:153], s[10:11], v[118:119]
	v_fma_f64 v[158:159], v[152:153], s[10:11], v[158:159]
	v_add_f64 v[118:119], v[148:149], -v[173:174]
	v_fma_f64 v[156:157], v[88:89], s[10:11], v[156:157]
	v_fma_f64 v[116:117], v[241:242], s[6:7], v[116:117]
	v_add_f64 v[128:129], v[134:135], v[175:176]
	v_add_f64 v[132:133], v[134:135], -v[175:176]
	v_add_f64 v[134:135], v[136:137], -v[177:178]
	v_add_f64 v[144:145], v[158:159], v[190:191]
	v_add_f64 v[152:153], v[156:157], -v[184:185]
	v_fma_f64 v[164:165], v[88:89], s[10:11], v[116:117]
	v_add_f64 v[116:117], v[142:143], -v[166:167]
	v_add_f64 v[88:89], v[140:141], v[150:151]
	v_add_f64 v[140:141], v[156:157], v[184:185]
	;; [unrolled: 1-line block ×3, first 2 shown]
	v_add_f64 v[150:151], v[160:161], -v[181:182]
	v_add_f64 v[156:157], v[158:159], -v[190:191]
	;; [unrolled: 1-line block ×3, first 2 shown]
	v_add_f64 v[136:137], v[164:165], v[179:180]
	v_add_f64 v[148:149], v[164:165], -v[179:180]
	v_mov_b32_e32 v234, v8
	s_delay_alu instid0(VALU_DEP_1) | instskip(NEXT) | instid1(VALU_DEP_1)
	v_mul_i32_i24_e32 v8, 10, v234
	v_lshl_add_u32 v8, v8, 4, 0
	ds_store_b128 v194, v[52:55] offset:96
	ds_store_b128 v194, v[60:63] offset:112
	;; [unrolled: 1-line block ×4, first 2 shown]
	ds_store_b128 v8, v[80:83]
	ds_store_b128 v8, v[88:91] offset:16
	ds_store_b128 v8, v[96:99] offset:32
	;; [unrolled: 1-line block ×9, first 2 shown]
	ds_store_b128 v9, v[120:123]
	ds_store_b128 v9, v[128:131] offset:16
	ds_store_b128 v9, v[136:139] offset:32
	;; [unrolled: 1-line block ×9, first 2 shown]
	v_cmpx_gt_u32_e32 36, v172
	s_cbranch_execz .LBB0_15
; %bb.14:
	v_add_f64 v[8:9], v[22:23], v[18:19]
	v_add_f64 v[10:11], v[34:35], v[14:15]
	;; [unrolled: 1-line block ×4, first 2 shown]
	v_add_f64 v[44:45], v[22:23], -v[18:19]
	v_add_f64 v[46:47], v[20:21], -v[16:17]
	;; [unrolled: 1-line block ×4, first 2 shown]
	v_add_f64 v[52:53], v[26:27], v[30:31]
	v_add_f64 v[54:55], v[34:35], -v[22:23]
	v_add_f64 v[56:57], v[14:15], -v[18:19]
	v_add_f64 v[58:59], v[6:7], v[2:3]
	v_add_f64 v[60:61], v[20:21], -v[32:33]
	v_add_f64 v[62:63], v[16:17], -v[12:13]
	;; [unrolled: 1-line block ×4, first 2 shown]
	v_add_f64 v[68:69], v[24:25], v[28:29]
	v_add_f64 v[70:71], v[4:5], v[0:1]
	v_add_f64 v[78:79], v[32:33], -v[20:21]
	v_add_f64 v[80:81], v[12:13], -v[16:17]
	;; [unrolled: 1-line block ×4, first 2 shown]
	v_add_f64 v[88:89], v[237:238], v[6:7]
	v_add_f64 v[34:35], v[38:39], v[34:35]
	v_add_f64 v[90:91], v[26:27], -v[30:31]
	v_add_f64 v[92:93], v[235:236], v[4:5]
	v_add_f64 v[32:33], v[36:37], v[32:33]
	v_fma_f64 v[8:9], v[8:9], -0.5, v[38:39]
	v_fma_f64 v[10:11], v[10:11], -0.5, v[38:39]
	;; [unrolled: 1-line block ×4, first 2 shown]
	v_add_f64 v[38:39], v[6:7], -v[2:3]
	v_fma_f64 v[36:37], v[52:53], -0.5, v[237:238]
	v_add_f64 v[52:53], v[54:55], v[56:57]
	v_fma_f64 v[54:55], v[58:59], -0.5, v[237:238]
	v_add_f64 v[56:57], v[60:61], v[62:63]
	v_add_f64 v[58:59], v[64:65], v[66:67]
	v_fma_f64 v[60:61], v[68:69], -0.5, v[235:236]
	v_fma_f64 v[62:63], v[70:71], -0.5, v[235:236]
	v_add_f64 v[70:71], v[78:79], v[80:81]
	v_add_f64 v[78:79], v[28:29], -v[0:1]
	v_add_f64 v[22:23], v[34:35], v[22:23]
	v_add_f64 v[20:21], v[32:33], v[20:21]
	v_fma_f64 v[72:73], v[48:49], s[2:3], v[8:9]
	v_fma_f64 v[74:75], v[46:47], s[12:13], v[10:11]
	;; [unrolled: 1-line block ×14, first 2 shown]
	v_add_f64 v[18:19], v[22:23], v[18:19]
	v_add_f64 v[16:17], v[20:21], v[16:17]
	v_fma_f64 v[64:65], v[46:47], s[6:7], v[72:73]
	v_fma_f64 v[66:67], v[48:49], s[6:7], v[74:75]
	;; [unrolled: 1-line block ×7, first 2 shown]
	v_add_f64 v[44:45], v[6:7], -v[26:27]
	v_add_f64 v[48:49], v[2:3], -v[30:31]
	;; [unrolled: 1-line block ×7, first 2 shown]
	v_add_f64 v[26:27], v[88:89], v[26:27]
	v_add_f64 v[24:25], v[92:93], v[24:25]
	v_fma_f64 v[82:83], v[90:91], s[2:3], v[62:63]
	v_fma_f64 v[62:63], v[90:91], s[12:13], v[62:63]
	;; [unrolled: 1-line block ×5, first 2 shown]
	v_add_f64 v[14:15], v[18:19], v[14:15]
	v_add_f64 v[12:13], v[16:17], v[12:13]
	v_fma_f64 v[64:65], v[52:53], s[10:11], v[64:65]
	v_fma_f64 v[66:67], v[58:59], s[10:11], v[66:67]
	;; [unrolled: 1-line block ×8, first 2 shown]
	v_add_f64 v[44:45], v[44:45], v[48:49]
	v_add_f64 v[6:7], v[6:7], v[50:51]
	;; [unrolled: 1-line block ×6, first 2 shown]
	v_fma_f64 v[24:25], v[86:87], s[6:7], v[34:35]
	v_fma_f64 v[28:29], v[86:87], s[14:15], v[54:55]
	;; [unrolled: 1-line block ×6, first 2 shown]
	v_mul_f64 v[36:37], v[64:65], s[16:17]
	v_mul_f64 v[50:51], v[66:67], s[10:11]
	;; [unrolled: 1-line block ×7, first 2 shown]
	v_fma_f64 v[16:17], v[44:45], s[10:11], v[20:21]
	v_mul_f64 v[46:47], v[46:47], s[16:17]
	v_fma_f64 v[70:71], v[48:49], s[10:11], v[32:33]
	v_add_f64 v[26:27], v[26:27], v[2:3]
	v_add_f64 v[18:19], v[22:23], v[0:1]
	v_fma_f64 v[20:21], v[6:7], s[10:11], v[24:25]
	v_fma_f64 v[24:25], v[6:7], s[10:11], v[28:29]
	;; [unrolled: 1-line block ×3, first 2 shown]
	v_fma_f64 v[22:23], v[42:43], s[14:15], -v[36:37]
	v_fma_f64 v[28:29], v[40:41], s[12:13], -v[50:51]
	v_fma_f64 v[30:31], v[10:11], s[10:11], v[54:55]
	v_fma_f64 v[40:41], v[4:5], s[10:11], v[34:35]
	v_fma_f64 v[36:37], v[48:49], s[10:11], v[56:57]
	v_fma_f64 v[48:49], v[66:67], s[2:3], -v[60:61]
	v_fma_f64 v[42:43], v[4:5], s[10:11], v[38:39]
	v_fma_f64 v[38:39], v[8:9], s[16:17], v[52:53]
	v_fma_f64 v[50:51], v[64:65], s[6:7], -v[62:63]
	v_fma_f64 v[8:9], v[8:9], s[6:7], v[46:47]
	v_fma_f64 v[46:47], v[68:69], s[10:11], v[58:59]
	v_add_f64 v[6:7], v[26:27], v[14:15]
	v_add_f64 v[0:1], v[18:19], -v[12:13]
	v_add_f64 v[4:5], v[18:19], v[12:13]
	v_add_f64 v[2:3], v[26:27], -v[14:15]
	v_add_f64 v[10:11], v[16:17], -v[22:23]
	;; [unrolled: 1-line block ×4, first 2 shown]
	v_add_f64 v[30:31], v[24:25], v[30:31]
	v_add_f64 v[26:27], v[20:21], v[28:29]
	;; [unrolled: 1-line block ×3, first 2 shown]
	v_add_f64 v[12:13], v[40:41], -v[48:49]
	scratch_load_b64 v[40:41], off, off     ; 8-byte Folded Reload
	v_add_f64 v[34:35], v[44:45], v[38:39]
	v_add_f64 v[32:33], v[36:37], v[8:9]
	;; [unrolled: 1-line block ×5, first 2 shown]
	v_add_f64 v[38:39], v[44:45], -v[38:39]
	v_add_f64 v[36:37], v[36:37], -v[8:9]
	;; [unrolled: 1-line block ×4, first 2 shown]
	s_waitcnt vmcnt(0)
	v_mul_i32_i24_e32 v40, 10, v40
	s_delay_alu instid0(VALU_DEP_1)
	v_lshl_add_u32 v40, v40, 4, 0
	ds_store_b128 v40, v[4:7]
	ds_store_b128 v40, v[32:35] offset:16
	ds_store_b128 v40, v[28:31] offset:32
	;; [unrolled: 1-line block ×9, first 2 shown]
.LBB0_15:
	s_or_b32 exec_lo, exec_lo, s1
	v_add_nc_u32_e32 v5, 0xf0, v172
	v_and_b32_e32 v0, 0xff, v172
	v_and_b32_e32 v1, 0xff, v234
	;; [unrolled: 1-line block ×3, first 2 shown]
	s_waitcnt lgkmcnt(0)
	v_mov_b32_e32 v19, v5
	v_mul_lo_u16 v0, 0xcd, v0
	s_barrier
	v_mul_lo_u16 v2, 0xcd, v2
	buffer_gl0_inv
	v_and_b32_e32 v237, 0xffff, v5
	v_lshrrev_b16 v238, 11, v0
	v_add_nc_u32_e32 v175, 0x12c, v172
	v_lshrrev_b16 v243, 11, v2
	v_lshl_add_u32 v233, v234, 4, 0
	v_mul_u32_u24_e32 v12, 0xcccd, v237
	v_mul_lo_u16 v0, v238, 10
	v_and_b32_e32 v235, 0xffff, v175
	s_mov_b32 s6, 0xe8584caa
	s_mov_b32 s7, 0x3febb67a
	v_lshrrev_b32_e32 v246, 19, v12
	v_sub_nc_u16 v0, v172, v0
	v_mul_u32_u24_e32 v18, 0xcccd, v235
	s_mov_b32 s3, 0xbfebb67a
	s_mov_b32 s2, s6
	v_mul_lo_u16 v17, v246, 10
	v_and_b32_e32 v239, 0xff, v0
	v_mul_lo_u16 v0, 0xcd, v1
	v_lshrrev_b32_e32 v248, 19, v18
	s_add_u32 s1, s4, 0x8660
	v_sub_nc_u16 v24, v19, v17
	v_mul_u32_u24_e32 v1, 5, v239
	v_lshrrev_b16 v240, 11, v0
	s_delay_alu instid0(VALU_DEP_3) | instskip(NEXT) | instid1(VALU_DEP_3)
	v_and_b32_e32 v247, 0xffff, v24
	v_lshlrev_b32_e32 v0, 4, v1
	s_delay_alu instid0(VALU_DEP_3) | instskip(SKIP_1) | instid1(VALU_DEP_4)
	v_mul_lo_u16 v1, v240, 10
	v_mul_lo_u16 v24, v248, 10
	v_mul_u32_u24_e32 v25, 5, v247
	s_clause 0x1
	global_load_b128 v[80:83], v0, s[4:5]
	global_load_b128 v[84:87], v0, s[4:5] offset:16
	v_sub_nc_u16 v1, v234, v1
	s_clause 0x1
	global_load_b128 v[100:103], v0, s[4:5] offset:32
	global_load_b128 v[88:91], v0, s[4:5] offset:48
	v_sub_nc_u16 v24, v175, v24
	v_lshlrev_b32_e32 v32, 4, v25
	v_and_b32_e32 v241, 0xff, v1
	s_delay_alu instid0(VALU_DEP_3) | instskip(NEXT) | instid1(VALU_DEP_2)
	v_and_b32_e32 v249, 0xffff, v24
	v_mul_u32_u24_e32 v1, 5, v241
	s_delay_alu instid0(VALU_DEP_2) | instskip(NEXT) | instid1(VALU_DEP_2)
	v_mul_u32_u24_e32 v33, 5, v249
	v_lshlrev_b32_e32 v1, 4, v1
	s_clause 0x5
	global_load_b128 v[96:99], v0, s[4:5] offset:64
	global_load_b128 v[108:111], v1, s[4:5]
	global_load_b128 v[104:107], v1, s[4:5] offset:16
	global_load_b128 v[112:115], v1, s[4:5] offset:32
	;; [unrolled: 1-line block ×4, first 2 shown]
	scratch_load_b64 v[1:2], off, off       ; 8-byte Folded Reload
	v_mul_lo_u16 v0, v243, 10
	v_lshlrev_b32_e32 v60, 4, v33
	s_delay_alu instid0(VALU_DEP_2) | instskip(NEXT) | instid1(VALU_DEP_1)
	v_sub_nc_u16 v0, v183, v0
	v_and_b32_e32 v242, 0xff, v0
	s_delay_alu instid0(VALU_DEP_1) | instskip(NEXT) | instid1(VALU_DEP_1)
	v_mul_u32_u24_e32 v0, 5, v242
	v_lshlrev_b32_e32 v0, 4, v0
	s_clause 0x3
	global_load_b128 v[136:139], v0, s[4:5]
	global_load_b128 v[140:143], v0, s[4:5] offset:16
	global_load_b128 v[132:135], v0, s[4:5] offset:32
	;; [unrolled: 1-line block ×3, first 2 shown]
	s_waitcnt vmcnt(4)
	v_mov_b32_e32 v182, v1
	s_delay_alu instid0(VALU_DEP_1) | instskip(NEXT) | instid1(VALU_DEP_1)
	v_and_b32_e32 v236, 0xff, v182
	v_mul_lo_u16 v1, 0xcd, v236
	s_delay_alu instid0(VALU_DEP_1) | instskip(NEXT) | instid1(VALU_DEP_1)
	v_lshrrev_b16 v245, 11, v1
	v_mul_lo_u16 v1, v245, 10
	s_delay_alu instid0(VALU_DEP_1) | instskip(NEXT) | instid1(VALU_DEP_1)
	v_sub_nc_u16 v1, v182, v1
	v_and_b32_e32 v244, 0xff, v1
	global_load_b128 v[0:3], v0, s[4:5] offset:64
	v_mul_u32_u24_e32 v4, 5, v244
	s_delay_alu instid0(VALU_DEP_1)
	v_lshlrev_b32_e32 v16, 4, v4
	s_clause 0xe
	global_load_b128 v[8:11], v16, s[4:5]
	global_load_b128 v[4:7], v16, s[4:5] offset:16
	global_load_b128 v[12:15], v16, s[4:5] offset:32
	global_load_b128 v[20:23], v16, s[4:5] offset:48
	global_load_b128 v[16:19], v16, s[4:5] offset:64
	global_load_b128 v[40:43], v32, s[4:5]
	global_load_b128 v[28:31], v32, s[4:5] offset:16
	global_load_b128 v[36:39], v32, s[4:5] offset:32
	global_load_b128 v[24:27], v32, s[4:5] offset:48
	global_load_b128 v[44:47], v32, s[4:5] offset:64
	;; [unrolled: 5-line block ×3, first 2 shown]
	ds_load_b128 v[92:95], v232 offset:5760
	ds_load_b128 v[116:119], v232 offset:11520
	;; [unrolled: 1-line block ×16, first 2 shown]
	s_waitcnt lgkmcnt(15)
	v_mul_f64 v[124:125], v[94:95], v[82:83]
	v_mul_f64 v[82:83], v[92:93], v[82:83]
	s_waitcnt lgkmcnt(14)
	v_mul_f64 v[144:145], v[118:119], v[86:87]
	v_mul_f64 v[86:87], v[116:117], v[86:87]
	;; [unrolled: 3-line block ×6, first 2 shown]
	s_waitcnt vmcnt(19) lgkmcnt(5)
	v_mul_f64 v[218:219], v[152:153], v[138:139]
	v_mul_f64 v[226:227], v[150:151], v[138:139]
	s_waitcnt vmcnt(18) lgkmcnt(3)
	v_mul_f64 v[138:139], v[156:157], v[142:143]
	v_mul_f64 v[224:225], v[154:155], v[142:143]
	;; [unrolled: 3-line block ×3, first 2 shown]
	v_mul_f64 v[184:185], v[204:205], v[98:99]
	v_mul_f64 v[98:99], v[202:203], v[98:99]
	;; [unrolled: 1-line block ×8, first 2 shown]
	v_fma_f64 v[164:165], v[92:93], v[80:81], -v[124:125]
	v_fma_f64 v[162:163], v[94:95], v[80:81], v[82:83]
	ds_load_b128 v[124:127], v232 offset:24960
	ds_load_b128 v[80:83], v232 offset:25920
	v_fma_f64 v[186:187], v[116:117], v[84:85], -v[144:145]
	v_fma_f64 v[190:191], v[118:119], v[84:85], v[86:87]
	ds_load_b128 v[92:95], v232 offset:30720
	ds_load_b128 v[84:87], v232 offset:31680
	v_fma_f64 v[196:197], v[166:167], v[100:101], -v[170:171]
	v_fma_f64 v[194:195], v[168:169], v[100:101], v[102:103]
	v_fma_f64 v[166:167], v[198:199], v[88:89], -v[180:181]
	v_fma_f64 v[168:169], v[200:201], v[88:89], v[90:91]
	;; [unrolled: 2-line block ×5, first 2 shown]
	ds_load_b128 v[88:91], v232 offset:32640
	v_lshl_add_u32 v181, v183, 4, 0
	v_fma_f64 v[184:185], v[202:203], v[96:97], -v[184:185]
	v_fma_f64 v[170:171], v[204:205], v[96:97], v[98:99]
	ds_load_b128 v[100:103], v232 offset:9600
	ds_load_b128 v[96:99], v232 offset:10560
	s_waitcnt vmcnt(16) lgkmcnt(6)
	v_mul_f64 v[210:211], v[126:127], v[66:67]
	v_mul_f64 v[212:213], v[124:125], v[66:67]
	v_fma_f64 v[192:193], v[206:207], v[108:109], -v[188:189]
	v_fma_f64 v[188:189], v[208:209], v[108:109], v[110:111]
	ds_load_b128 v[104:107], v232 offset:15360
	ds_load_b128 v[108:111], v232 offset:16320
	v_fma_f64 v[204:205], v[250:251], v[112:113], -v[254:255]
	v_fma_f64 v[202:203], v[252:253], v[112:113], v[114:115]
	ds_load_b128 v[116:119], v232 offset:21120
	ds_load_b128 v[112:115], v232 offset:22080
	v_fma_f64 v[66:67], v[178:179], v[120:121], v[122:123]
	v_and_b32_e32 v178, 0xffff, v238
	v_and_b32_e32 v179, 0xffff, v240
	;; [unrolled: 1-line block ×3, first 2 shown]
	s_delay_alu instid0(VALU_DEP_2) | instskip(NEXT) | instid1(VALU_DEP_2)
	v_mul_u32_u24_e32 v224, 0x3c0, v179
	v_mul_u32_u24_e32 v180, 0x3c0, v180
	s_waitcnt vmcnt(15) lgkmcnt(8)
	v_mul_f64 v[206:207], v[94:95], v[2:3]
	v_mul_f64 v[208:209], v[92:93], v[2:3]
	v_fma_f64 v[2:3], v[176:177], v[120:121], -v[173:174]
	ds_load_b128 v[120:123], v232 offset:26880
	ds_load_b128 v[142:145], v232 offset:27840
	v_fma_f64 v[173:174], v[124:125], v[64:65], -v[210:211]
	v_fma_f64 v[64:65], v[126:127], v[64:65], v[212:213]
	v_mul_u32_u24_e32 v213, 0x3c0, v178
	v_lshl_add_u32 v177, v182, 4, 0
	v_and_b32_e32 v212, 0xffff, v245
	v_mul_u32_u24_e32 v176, 5, v172
	s_waitcnt vmcnt(14)
	v_mul_f64 v[220:221], v[70:71], v[10:11]
	v_mul_f64 v[222:223], v[68:69], v[10:11]
	s_waitcnt vmcnt(13)
	v_mul_f64 v[216:217], v[74:75], v[6:7]
	v_mul_f64 v[218:219], v[72:73], v[6:7]
	v_fma_f64 v[6:7], v[154:155], v[140:141], -v[138:139]
	s_waitcnt vmcnt(12)
	v_mul_f64 v[154:155], v[78:79], v[14:15]
	v_mul_f64 v[156:157], v[76:77], v[14:15]
	v_fma_f64 v[10:11], v[152:153], v[136:137], v[226:227]
	v_fma_f64 v[152:153], v[158:159], v[132:133], -v[228:229]
	v_fma_f64 v[14:15], v[160:161], v[132:133], v[230:231]
	s_waitcnt vmcnt(11)
	v_mul_f64 v[132:133], v[82:83], v[22:23]
	v_mul_f64 v[22:23], v[80:81], v[22:23]
	ds_load_b128 v[134:137], v232 offset:33600
	ds_load_b128 v[128:131], v232
	s_waitcnt vmcnt(10) lgkmcnt(11)
	v_mul_f64 v[124:125], v[86:87], v[18:19]
	v_mul_f64 v[18:19], v[84:85], v[18:19]
	s_waitcnt vmcnt(8) lgkmcnt(7)
	v_mul_f64 v[178:179], v[106:107], v[30:31]
	v_mul_f64 v[30:31], v[104:105], v[30:31]
	;; [unrolled: 3-line block ×3, first 2 shown]
	ds_load_b128 v[138:141], v232 offset:3840
	ds_load_b128 v[158:161], v232 offset:4800
	v_fma_f64 v[126:127], v[92:93], v[0:1], -v[206:207]
	v_fma_f64 v[0:1], v[94:95], v[0:1], v[208:209]
	ds_load_b128 v[92:95], v233
	ds_load_b128 v[206:209], v181
	v_fma_f64 v[68:69], v[68:69], v[8:9], -v[220:221]
	v_fma_f64 v[8:9], v[70:71], v[8:9], v[222:223]
	v_mul_f64 v[70:71], v[102:103], v[42:43]
	v_mul_f64 v[42:43], v[100:101], v[42:43]
	v_fma_f64 v[72:73], v[72:73], v[4:5], -v[216:217]
	v_fma_f64 v[4:5], v[74:75], v[4:5], v[218:219]
	v_mul_f64 v[74:75], v[118:119], v[38:39]
	v_mul_f64 v[38:39], v[116:117], v[38:39]
	v_fma_f64 v[76:77], v[76:77], v[12:13], -v[154:155]
	v_fma_f64 v[12:13], v[78:79], v[12:13], v[156:157]
	s_waitcnt vmcnt(5)
	v_mul_f64 v[78:79], v[90:91], v[46:47]
	v_mul_f64 v[46:47], v[88:89], v[46:47]
	s_waitcnt vmcnt(4)
	v_mul_f64 v[154:155], v[98:99], v[34:35]
	v_mul_f64 v[34:35], v[96:97], v[34:35]
	v_fma_f64 v[80:81], v[80:81], v[20:21], -v[132:133]
	v_fma_f64 v[20:21], v[82:83], v[20:21], v[22:23]
	s_waitcnt vmcnt(3)
	v_mul_f64 v[22:23], v[110:111], v[58:59]
	v_mul_f64 v[58:59], v[108:109], v[58:59]
	s_waitcnt vmcnt(2)
	v_mul_f64 v[82:83], v[114:115], v[54:55]
	v_mul_f64 v[54:55], v[112:113], v[54:55]
	s_waitcnt vmcnt(1) lgkmcnt(6)
	v_mul_f64 v[132:133], v[144:145], v[50:51]
	v_mul_f64 v[50:51], v[142:143], v[50:51]
	s_waitcnt vmcnt(0) lgkmcnt(5)
	v_mul_f64 v[156:157], v[136:137], v[62:63]
	v_mul_f64 v[62:63], v[134:135], v[62:63]
	v_fma_f64 v[84:85], v[84:85], v[16:17], -v[124:125]
	v_fma_f64 v[86:87], v[86:87], v[16:17], v[18:19]
	v_lshlrev_b32_e32 v16, 4, v239
	v_lshlrev_b32_e32 v17, 4, v241
	v_lshlrev_b32_e32 v18, 4, v242
	v_lshlrev_b32_e32 v217, 4, v244
	v_mul_u32_u24_e32 v125, 0x3c0, v212
	v_add3_u32 v244, 0, v213, v16
	v_add3_u32 v245, 0, v224, v17
	;; [unrolled: 1-line block ×3, first 2 shown]
	ds_load_b128 v[16:19], v177
	v_mul_u32_u24_e32 v212, 0x3c0, v246
	v_mul_u32_u24_e32 v216, 0x3c0, v248
	v_lshlrev_b32_e32 v213, 4, v247
	v_lshlrev_b32_e32 v218, 4, v249
	;; [unrolled: 1-line block ×3, first 2 shown]
	v_fma_f64 v[70:71], v[100:101], v[40:41], -v[70:71]
	v_fma_f64 v[40:41], v[102:103], v[40:41], v[42:43]
	v_fma_f64 v[42:43], v[104:105], v[28:29], -v[178:179]
	v_fma_f64 v[28:29], v[106:107], v[28:29], v[30:31]
	;; [unrolled: 2-line block ×6, first 2 shown]
	v_add_f64 v[74:75], v[198:199], v[2:3]
	v_add_f64 v[88:89], v[150:151], v[64:65]
	v_fma_f64 v[22:23], v[108:109], v[56:57], -v[22:23]
	v_fma_f64 v[34:35], v[110:111], v[56:57], v[58:59]
	v_fma_f64 v[56:57], v[112:113], v[52:53], -v[82:83]
	v_fma_f64 v[52:53], v[114:115], v[52:53], v[54:55]
	;; [unrolled: 2-line block ×4, first 2 shown]
	v_add_f64 v[60:61], v[186:187], v[166:167]
	v_add_f64 v[62:63], v[190:191], v[168:169]
	;; [unrolled: 1-line block ×5, first 2 shown]
	s_waitcnt lgkmcnt(5)
	v_add_f64 v[100:101], v[130:131], v[190:191]
	v_add_f64 v[116:117], v[196:197], v[184:185]
	;; [unrolled: 1-line block ×6, first 2 shown]
	s_waitcnt lgkmcnt(2)
	v_add_f64 v[106:107], v[94:95], v[200:201]
	v_add_f64 v[122:123], v[162:163], v[194:195]
	v_add_f64 v[136:137], v[192:193], v[204:205]
	v_add_f64 v[142:143], v[204:205], v[214:215]
	v_add_f64 v[156:157], v[202:203], v[146:147]
	s_waitcnt lgkmcnt(1)
	v_add_f64 v[110:111], v[208:209], v[150:151]
	v_add_f64 v[118:119], v[190:191], -v[168:169]
	v_add_f64 v[144:145], v[194:195], -v[170:171]
	v_add_f64 v[154:155], v[188:189], v[202:203]
	v_add_f64 v[178:179], v[200:201], -v[66:67]
	v_add_f64 v[190:191], v[148:149], v[152:153]
	v_add_f64 v[194:195], v[152:153], v[126:127]
	;; [unrolled: 1-line block ×3, first 2 shown]
	v_add3_u32 v176, 0, v125, v217
	v_add3_u32 v246, 0, v212, v213
	;; [unrolled: 1-line block ×3, first 2 shown]
	s_waitcnt lgkmcnt(0)
	v_add_f64 v[112:113], v[16:17], v[72:73]
	v_add_f64 v[114:115], v[18:19], v[4:5]
	;; [unrolled: 1-line block ×6, first 2 shown]
	v_add_f64 v[218:219], v[4:5], -v[20:21]
	v_add_f64 v[220:221], v[12:13], -v[86:87]
	v_add_f64 v[4:5], v[42:43], v[38:39]
	v_add_f64 v[12:13], v[28:29], v[24:25]
	;; [unrolled: 1-line block ×6, first 2 shown]
	v_add_f64 v[242:243], v[28:29], -v[24:25]
	v_fma_f64 v[28:29], v[60:61], -0.5, v[128:129]
	v_fma_f64 v[60:61], v[62:63], -0.5, v[130:131]
	v_add_f64 v[62:63], v[160:161], v[34:35]
	v_fma_f64 v[74:75], v[74:75], -0.5, v[92:93]
	v_add_f64 v[92:93], v[34:35], v[48:49]
	;; [unrolled: 2-line block ×3, first 2 shown]
	v_add_f64 v[208:209], v[34:35], -v[48:49]
	v_fma_f64 v[34:35], v[90:91], -0.5, v[16:17]
	v_add_f64 v[16:17], v[52:53], v[58:59]
	v_add_f64 v[120:121], v[186:187], -v[166:167]
	v_add_f64 v[134:135], v[196:197], -v[184:185]
	v_fma_f64 v[78:79], v[78:79], -0.5, v[94:95]
	v_add_f64 v[94:95], v[46:47], v[56:57]
	v_fma_f64 v[90:91], v[96:97], -0.5, v[18:19]
	v_add_f64 v[96:97], v[100:101], v[168:169]
	v_fma_f64 v[100:101], v[116:117], -0.5, v[164:165]
	v_fma_f64 v[116:117], v[132:133], -0.5, v[162:163]
	v_add_f64 v[108:109], v[206:207], v[6:7]
	v_add_f64 v[186:187], v[198:199], -v[2:3]
	v_add_f64 v[196:197], v[204:205], -v[214:215]
	v_add_f64 v[198:199], v[10:11], v[14:15]
	v_add_f64 v[202:203], v[202:203], -v[146:147]
	v_add_f64 v[204:205], v[6:7], -v[173:174]
	v_add_f64 v[6:7], v[68:69], v[76:77]
	v_add_f64 v[240:241], v[158:159], v[22:23]
	;; [unrolled: 1-line block ×3, first 2 shown]
	v_fma_f64 v[82:83], v[82:83], -0.5, v[206:207]
	v_add_f64 v[206:207], v[22:23], -v[54:55]
	v_add_f64 v[22:23], v[32:33], v[52:53]
	v_add_f64 v[18:19], v[52:53], -v[58:59]
	v_add_f64 v[52:53], v[56:57], -v[50:51]
	v_add_f64 v[56:57], v[98:99], v[166:167]
	v_add_f64 v[98:99], v[102:103], v[184:185]
	;; [unrolled: 1-line block ×5, first 2 shown]
	v_fma_f64 v[122:123], v[142:143], -0.5, v[192:193]
	v_fma_f64 v[136:137], v[156:157], -0.5, v[188:189]
	v_add_f64 v[150:151], v[150:151], -v[64:65]
	v_add_f64 v[152:153], v[152:153], -v[126:127]
	v_add_f64 v[14:15], v[14:15], -v[0:1]
	v_add_f64 v[132:133], v[154:155], v[146:147]
	v_add_f64 v[64:65], v[110:111], v[64:65]
	;; [unrolled: 1-line block ×3, first 2 shown]
	v_fma_f64 v[125:126], v[194:195], -0.5, v[148:149]
	v_fma_f64 v[146:147], v[200:201], -0.5, v[10:11]
	v_add_f64 v[72:73], v[72:73], -v[80:81]
	v_add_f64 v[76:77], v[76:77], -v[84:85]
	v_add_f64 v[80:81], v[112:113], v[80:81]
	v_add_f64 v[112:113], v[114:115], v[20:21]
	v_fma_f64 v[20:21], v[210:211], -0.5, v[68:69]
	v_add_f64 v[68:69], v[212:213], v[86:87]
	v_fma_f64 v[86:87], v[216:217], -0.5, v[8:9]
	v_add_f64 v[104:105], v[104:105], v[2:3]
	v_add_f64 v[222:223], v[138:139], v[42:43]
	;; [unrolled: 1-line block ×3, first 2 shown]
	v_add_f64 v[30:31], v[30:31], -v[26:27]
	v_add_f64 v[36:37], v[36:37], -v[44:45]
	v_fma_f64 v[114:115], v[4:5], -0.5, v[138:139]
	v_fma_f64 v[138:139], v[12:13], -0.5, v[140:141]
	v_add_f64 v[140:141], v[224:225], v[24:25]
	v_add_f64 v[148:149], v[226:227], v[26:27]
	v_fma_f64 v[24:25], v[228:229], -0.5, v[70:71]
	v_fma_f64 v[26:27], v[238:239], -0.5, v[40:41]
	;; [unrolled: 1-line block ×4, first 2 shown]
	v_add_f64 v[48:49], v[62:63], v[48:49]
	v_fma_f64 v[62:63], v[92:93], -0.5, v[160:161]
	v_add_f64 v[50:51], v[94:95], v[50:51]
	v_fma_f64 v[70:71], v[118:119], s[6:7], v[28:29]
	v_fma_f64 v[92:93], v[118:119], s[2:3], v[28:29]
	;; [unrolled: 1-line block ×8, first 2 shown]
	v_add_f64 v[108:109], v[108:109], v[173:174]
	v_add_f64 v[142:143], v[198:199], v[0:1]
	;; [unrolled: 1-line block ×5, first 2 shown]
	v_add_f64 v[4:5], v[56:57], -v[98:99]
	v_add_f64 v[6:7], v[96:97], -v[102:103]
	v_fma_f64 v[56:57], v[196:197], s[2:3], v[136:137]
	v_fma_f64 v[102:103], v[202:203], s[6:7], v[122:123]
	;; [unrolled: 1-line block ×4, first 2 shown]
	v_fma_f64 v[40:41], v[128:129], -0.5, v[158:159]
	v_fma_f64 v[127:128], v[152:153], s[2:3], v[146:147]
	v_fma_f64 v[129:130], v[14:15], s[2:3], v[125:126]
	;; [unrolled: 1-line block ×4, first 2 shown]
	v_add_f64 v[10:11], v[66:67], v[132:133]
	v_add_f64 v[14:15], v[66:67], -v[132:133]
	v_fma_f64 v[66:67], v[76:77], s[2:3], v[86:87]
	v_fma_f64 v[131:132], v[220:221], s[6:7], v[20:21]
	v_add_f64 v[8:9], v[104:105], v[106:107]
	v_add_f64 v[12:13], v[104:105], -v[106:107]
	v_fma_f64 v[104:105], v[150:151], s[6:7], v[82:83]
	v_fma_f64 v[106:107], v[150:151], s[2:3], v[82:83]
	;; [unrolled: 1-line block ×14, first 2 shown]
	v_mul_f64 v[36:37], v[32:33], s[6:7]
	v_mul_f64 v[158:159], v[100:101], s[2:3]
	v_mul_f64 v[46:47], v[60:61], -0.5
	v_mul_f64 v[160:161], v[116:117], -0.5
	v_add_f64 v[58:59], v[22:23], v[58:59]
	v_add_f64 v[16:17], v[108:109], v[110:111]
	;; [unrolled: 1-line block ×3, first 2 shown]
	v_add_f64 v[20:21], v[108:109], -v[110:111]
	v_add_f64 v[22:23], v[64:65], -v[142:143]
	v_mul_f64 v[64:65], v[56:57], s[6:7]
	v_mul_f64 v[110:111], v[102:103], s[2:3]
	v_mul_f64 v[108:109], v[98:99], -0.5
	v_mul_f64 v[142:143], v[120:121], -0.5
	v_fma_f64 v[166:167], v[72:73], s[2:3], v[90:91]
	v_fma_f64 v[168:169], v[72:73], s[6:7], v[90:91]
	v_mul_f64 v[72:73], v[127:128], s[6:7]
	v_mul_f64 v[170:171], v[125:126], s[2:3]
	v_mul_f64 v[90:91], v[129:130], -0.5
	v_mul_f64 v[173:174], v[134:135], -0.5
	v_add_f64 v[24:25], v[80:81], v[84:85]
	v_add_f64 v[26:27], v[112:113], v[68:69]
	v_add_f64 v[28:29], v[80:81], -v[84:85]
	v_add_f64 v[30:31], v[112:113], -v[68:69]
	v_mul_f64 v[68:69], v[66:67], s[6:7]
	v_mul_f64 v[84:85], v[131:132], s[2:3]
	v_add_f64 v[42:43], v[42:43], -v[38:39]
	v_mul_f64 v[80:81], v[82:83], -0.5
	v_mul_f64 v[112:113], v[76:77], -0.5
	v_fma_f64 v[96:97], v[178:179], s[6:7], v[74:75]
	v_fma_f64 v[74:75], v[178:179], s[2:3], v[74:75]
	;; [unrolled: 1-line block ×4, first 2 shown]
	v_mul_f64 v[114:115], v[86:87], s[6:7]
	v_mul_f64 v[188:189], v[146:147], s[2:3]
	v_fma_f64 v[122:123], v[186:187], s[2:3], v[78:79]
	v_fma_f64 v[78:79], v[186:187], s[6:7], v[78:79]
	v_mul_f64 v[186:187], v[88:89], -0.5
	v_mul_f64 v[190:191], v[150:151], -0.5
	v_add_f64 v[38:39], v[222:223], v[38:39]
	v_add_f64 v[44:45], v[230:231], v[44:45]
	v_mul_f64 v[192:193], v[152:153], s[6:7]
	v_mul_f64 v[196:197], v[156:157], s[2:3]
	v_mul_f64 v[194:195], v[154:155], -0.5
	v_mul_f64 v[198:199], v[52:53], -0.5
	v_add_f64 v[54:55], v[240:241], v[54:55]
	v_fma_f64 v[100:101], v[100:101], 0.5, v[36:37]
	v_fma_f64 v[158:159], v[32:33], 0.5, v[158:159]
	v_fma_f64 v[116:117], v[116:117], s[6:7], v[46:47]
	v_fma_f64 v[160:161], v[60:61], s[2:3], v[160:161]
	v_fma_f64 v[102:103], v[102:103], 0.5, v[64:65]
	v_fma_f64 v[110:111], v[56:57], 0.5, v[110:111]
	v_fma_f64 v[108:109], v[120:121], s[6:7], v[108:109]
	v_fma_f64 v[98:99], v[98:99], s[2:3], v[142:143]
	;; [unrolled: 4-line block ×3, first 2 shown]
	v_fma_f64 v[162:163], v[218:219], s[6:7], v[34:35]
	v_fma_f64 v[164:165], v[218:219], s[2:3], v[34:35]
	v_fma_f64 v[142:143], v[208:209], s[2:3], v[40:41]
	v_fma_f64 v[170:171], v[206:207], s[6:7], v[62:63]
	v_fma_f64 v[129:130], v[131:132], 0.5, v[68:69]
	v_fma_f64 v[133:134], v[66:67], 0.5, v[84:85]
	v_fma_f64 v[200:201], v[42:43], s[2:3], v[138:139]
	v_fma_f64 v[131:132], v[76:77], s[6:7], v[80:81]
	;; [unrolled: 1-line block ×4, first 2 shown]
	v_add_f64 v[42:43], v[48:49], v[58:59]
	v_add_f64 v[46:47], v[48:49], -v[58:59]
	v_fma_f64 v[146:147], v[146:147], 0.5, v[114:115]
	v_fma_f64 v[173:174], v[86:87], 0.5, v[188:189]
	s_barrier
	buffer_gl0_inv
	v_fma_f64 v[150:151], v[150:151], s[6:7], v[186:187]
	v_fma_f64 v[186:187], v[88:89], s[2:3], v[190:191]
	v_add_f64 v[32:33], v[38:39], v[148:149]
	v_add_f64 v[34:35], v[140:141], v[44:45]
	v_add_f64 v[36:37], v[38:39], -v[148:149]
	v_add_f64 v[38:39], v[140:141], -v[44:45]
	v_fma_f64 v[140:141], v[208:209], s[6:7], v[40:41]
	v_fma_f64 v[148:149], v[206:207], s[2:3], v[62:63]
	v_fma_f64 v[156:157], v[156:157], 0.5, v[192:193]
	v_fma_f64 v[152:153], v[152:153], 0.5, v[196:197]
	v_fma_f64 v[188:189], v[52:53], s[6:7], v[194:195]
	v_fma_f64 v[154:155], v[154:155], s[2:3], v[198:199]
	v_add_f64 v[40:41], v[54:55], v[50:51]
	v_add_f64 v[44:45], v[54:55], -v[50:51]
	v_add_f64 v[48:49], v[70:71], v[100:101]
	v_add_f64 v[50:51], v[94:95], v[158:159]
	v_add_f64 v[52:53], v[92:93], v[116:117]
	v_add_f64 v[54:55], v[118:119], v[160:161]
	v_add_f64 v[56:57], v[70:71], -v[100:101]
	v_add_f64 v[58:59], v[94:95], -v[158:159]
	v_add_f64 v[60:61], v[92:93], -v[116:117]
	v_add_f64 v[62:63], v[118:119], -v[160:161]
	v_add_f64 v[64:65], v[96:97], v[102:103]
	v_add_f64 v[66:67], v[122:123], v[110:111]
	v_add_f64 v[68:69], v[74:75], v[108:109]
	v_add_f64 v[70:71], v[78:79], v[98:99]
	v_add_f64 v[72:73], v[96:97], -v[102:103]
	v_add_f64 v[76:77], v[74:75], -v[108:109]
	v_add_f64 v[74:75], v[122:123], -v[110:111]
	;; [unrolled: 8-line block ×6, first 2 shown]
	v_add_f64 v[143:144], v[170:171], -v[154:155]
	ds_store_b128 v244, v[0:3]
	ds_store_b128 v244, v[48:51] offset:160
	ds_store_b128 v244, v[4:7] offset:480
	ds_store_b128 v244, v[52:55] offset:320
	ds_store_b128 v244, v[56:59] offset:640
	ds_store_b128 v244, v[60:63] offset:800
	ds_store_b128 v245, v[8:11]
	ds_store_b128 v245, v[64:67] offset:160
	ds_store_b128 v245, v[68:71] offset:320
	ds_store_b128 v245, v[12:15] offset:480
	ds_store_b128 v245, v[72:75] offset:640
	ds_store_b128 v245, v[76:79] offset:800
	;; [unrolled: 6-line block ×6, first 2 shown]
	v_and_b32_e32 v4, 0xff, v183
	s_waitcnt lgkmcnt(0)
	s_barrier
	buffer_gl0_inv
	s_clause 0x1
	global_load_b128 v[0:3], v124, s[4:5] offset:800
	global_load_b128 v[12:15], v124, s[4:5] offset:816
	v_mul_lo_u16 v4, 0x89, v4
	global_load_b128 v[8:11], v124, s[4:5] offset:832
	v_mul_lo_u16 v17, 0x89, v236
	v_mul_u32_u24_e32 v40, 0x8889, v237
	v_mul_u32_u24_e32 v46, 0x8889, v235
	v_lshrrev_b16 v4, 13, v4
	v_add_nc_u32_e32 v248, 0xf0, v172
	v_add_co_u32 v180, s0, s4, v124
	v_lshrrev_b32_e32 v40, 21, v40
	s_delay_alu instid0(VALU_DEP_4)
	v_mul_lo_u16 v4, v4, 60
	v_lshrrev_b32_e32 v46, 21, v46
	v_mul_i32_i24_e32 v184, 5, v234
	v_mov_b32_e32 v185, 0
	v_mul_lo_u16 v45, v40, 60
	v_sub_nc_u16 v4, v183, v4
	s_delay_alu instid0(VALU_DEP_3) | instskip(NEXT) | instid1(VALU_DEP_3)
	v_lshlrev_b64 v[173:174], 4, v[184:185]
	v_sub_nc_u16 v45, v248, v45
	s_delay_alu instid0(VALU_DEP_3)
	v_and_b32_e32 v108, 0xff, v4
	global_load_b128 v[4:7], v124, s[4:5] offset:848
	v_add_co_ci_u32_e64 v184, null, s5, 0, s0
	v_and_b32_e32 v110, 0xffff, v45
	v_mul_u32_u24_e32 v16, 5, v108
	v_mul_lo_u16 v45, v46, 60
	s_delay_alu instid0(VALU_DEP_3) | instskip(NEXT) | instid1(VALU_DEP_3)
	v_mul_u32_u24_e32 v46, 5, v110
	v_lshlrev_b32_e32 v36, 4, v16
	s_clause 0x1
	global_load_b128 v[32:35], v124, s[4:5] offset:864
	global_load_b128 v[24:27], v36, s[4:5] offset:800
	v_lshrrev_b16 v16, 13, v17
	global_load_b128 v[28:31], v36, s[4:5] offset:816
	v_sub_nc_u16 v45, v175, v45
	v_lshlrev_b32_e32 v56, 4, v46
	v_lshl_add_u32 v246, v110, 4, 0
	v_mul_lo_u16 v16, v16, 60
	s_delay_alu instid0(VALU_DEP_4) | instskip(NEXT) | instid1(VALU_DEP_2)
	v_and_b32_e32 v111, 0xffff, v45
	v_sub_nc_u16 v37, v182, v16
	s_clause 0x1
	global_load_b128 v[20:23], v36, s[4:5] offset:832
	global_load_b128 v[16:19], v36, s[4:5] offset:848
	v_mul_u32_u24_e32 v57, 5, v111
	v_lshl_add_u32 v247, v111, 4, 0
	v_and_b32_e32 v109, 0xff, v37
	global_load_b128 v[36:39], v36, s[4:5] offset:864
	v_lshlrev_b32_e32 v96, 4, v57
	v_mul_u32_u24_e32 v41, 5, v109
	s_delay_alu instid0(VALU_DEP_1)
	v_lshlrev_b32_e32 v44, 4, v41
	s_clause 0xe
	global_load_b128 v[40:43], v44, s[4:5] offset:800
	global_load_b128 v[76:79], v44, s[4:5] offset:816
	;; [unrolled: 1-line block ×15, first 2 shown]
	ds_load_b128 v[104:107], v232 offset:5760
	ds_load_b128 v[100:103], v232 offset:6720
	;; [unrolled: 1-line block ×21, first 2 shown]
	s_waitcnt vmcnt(24) lgkmcnt(20)
	v_mul_f64 v[175:176], v[106:107], v[2:3]
	v_mul_f64 v[178:179], v[104:105], v[2:3]
	s_waitcnt lgkmcnt(19)
	v_mul_f64 v[202:203], v[102:103], v[2:3]
	v_mul_f64 v[204:205], v[100:101], v[2:3]
	s_waitcnt vmcnt(22) lgkmcnt(15)
	v_mul_f64 v[216:217], v[126:127], v[10:11]
	v_mul_f64 v[206:207], v[114:115], v[14:15]
	;; [unrolled: 1-line block ×8, first 2 shown]
	v_add_co_u32 v2, s0, 0x1000, v180
	s_delay_alu instid0(VALU_DEP_1)
	v_add_co_ci_u32_e64 v3, s0, 0, v184, s0
	s_waitcnt vmcnt(21) lgkmcnt(14)
	v_mul_f64 v[218:219], v[130:131], v[6:7]
	v_mul_f64 v[220:221], v[128:129], v[6:7]
	s_waitcnt lgkmcnt(13)
	v_mul_f64 v[222:223], v[134:135], v[6:7]
	v_mul_f64 v[224:225], v[132:133], v[6:7]
	s_waitcnt vmcnt(20) lgkmcnt(12)
	v_mul_f64 v[226:227], v[138:139], v[34:35]
	v_mul_f64 v[228:229], v[136:137], v[34:35]
	s_waitcnt lgkmcnt(11)
	v_mul_f64 v[230:231], v[142:143], v[34:35]
	v_mul_f64 v[34:35], v[140:141], v[34:35]
	s_waitcnt vmcnt(19) lgkmcnt(10)
	v_mul_f64 v[234:235], v[146:147], v[26:27]
	v_fma_f64 v[175:176], v[104:105], v[0:1], -v[175:176]
	v_fma_f64 v[178:179], v[106:107], v[0:1], v[178:179]
	v_mul_f64 v[26:27], v[144:145], v[26:27]
	s_waitcnt vmcnt(18) lgkmcnt(8)
	v_mul_f64 v[236:237], v[154:155], v[30:31]
	v_fma_f64 v[202:203], v[100:101], v[0:1], -v[202:203]
	v_fma_f64 v[0:1], v[102:103], v[0:1], v[204:205]
	v_mul_f64 v[204:205], v[152:153], v[30:31]
	v_fma_f64 v[124:125], v[124:125], v[8:9], -v[216:217]
	s_waitcnt vmcnt(16) lgkmcnt(4)
	v_mul_f64 v[242:243], v[170:171], v[18:19]
	v_mul_f64 v[18:19], v[168:169], v[18:19]
	v_fma_f64 v[206:207], v[112:113], v[12:13], -v[206:207]
	v_fma_f64 v[208:209], v[114:115], v[12:13], v[208:209]
	ds_load_b128 v[100:103], v232 offset:9600
	ds_load_b128 v[104:107], v232 offset:10560
	s_waitcnt vmcnt(15) lgkmcnt(4)
	v_mul_f64 v[216:217], v[192:193], v[38:39]
	v_fma_f64 v[210:211], v[116:117], v[12:13], -v[210:211]
	v_fma_f64 v[240:241], v[118:119], v[12:13], v[14:15]
	v_fma_f64 v[212:213], v[120:121], v[8:9], -v[212:213]
	v_fma_f64 v[214:215], v[122:123], v[8:9], v[214:215]
	v_fma_f64 v[126:127], v[126:127], v[8:9], v[10:11]
	ds_load_b128 v[6:9], v232 offset:15360
	ds_load_b128 v[10:13], v232 offset:16320
	;; [unrolled: 1-line block ×4, first 2 shown]
	v_fma_f64 v[128:129], v[128:129], v[4:5], -v[218:219]
	v_fma_f64 v[130:131], v[130:131], v[4:5], v[220:221]
	v_fma_f64 v[132:133], v[132:133], v[4:5], -v[222:223]
	v_fma_f64 v[4:5], v[134:135], v[4:5], v[224:225]
	v_mul_f64 v[238:239], v[162:163], v[22:23]
	v_mul_f64 v[14:15], v[160:161], v[22:23]
	s_waitcnt vmcnt(14)
	v_mul_f64 v[134:135], v[150:151], v[42:43]
	v_mul_f64 v[42:43], v[148:149], v[42:43]
	s_waitcnt vmcnt(13)
	v_mul_f64 v[218:219], v[158:159], v[78:79]
	v_mul_f64 v[78:79], v[156:157], v[78:79]
	;; [unrolled: 1-line block ×3, first 2 shown]
	s_waitcnt vmcnt(10) lgkmcnt(7)
	v_mul_f64 v[220:221], v[196:197], v[66:67]
	v_fma_f64 v[136:137], v[136:137], v[32:33], -v[226:227]
	v_fma_f64 v[138:139], v[138:139], v[32:33], v[228:229]
	v_fma_f64 v[140:141], v[140:141], v[32:33], -v[230:231]
	v_fma_f64 v[142:143], v[142:143], v[32:33], v[34:35]
	v_mul_f64 v[34:35], v[166:167], v[74:75]
	v_mul_f64 v[74:75], v[164:165], v[74:75]
	ds_load_b128 v[30:33], v232 offset:26880
	ds_load_b128 v[120:123], v232 offset:27840
	v_fma_f64 v[144:145], v[144:145], v[24:25], -v[234:235]
	v_fma_f64 v[146:147], v[146:147], v[24:25], v[26:27]
	v_fma_f64 v[152:153], v[152:153], v[28:29], -v[236:237]
	v_mul_f64 v[66:67], v[194:195], v[66:67]
	v_fma_f64 v[154:155], v[154:155], v[28:29], v[204:205]
	ds_load_b128 v[22:25], v232 offset:33600
	ds_load_b128 v[26:29], v232
	v_mul_f64 v[204:205], v[188:189], v[70:71]
	v_mul_f64 v[70:71], v[186:187], v[70:71]
	s_waitcnt vmcnt(8) lgkmcnt(7)
	v_mul_f64 v[224:225], v[8:9], v[46:47]
	v_mul_f64 v[46:47], v[6:7], v[46:47]
	s_waitcnt vmcnt(7) lgkmcnt(5)
	v_mul_f64 v[226:227], v[114:115], v[62:63]
	v_mul_f64 v[228:229], v[112:113], v[62:63]
	v_fma_f64 v[190:191], v[190:191], v[36:37], -v[216:217]
	s_waitcnt vmcnt(5)
	v_mul_f64 v[216:217], v[200:201], v[58:59]
	v_mul_f64 v[58:59], v[198:199], v[58:59]
	;; [unrolled: 1-line block ×4, first 2 shown]
	v_fma_f64 v[168:169], v[168:169], v[16:17], -v[242:243]
	s_waitcnt lgkmcnt(3)
	v_mul_f64 v[230:231], v[32:33], v[50:51]
	v_mul_f64 v[50:51], v[30:31], v[50:51]
	v_fma_f64 v[170:171], v[170:171], v[16:17], v[18:19]
	s_waitcnt vmcnt(4)
	v_mul_f64 v[234:235], v[106:107], v[94:95]
	v_mul_f64 v[94:95], v[104:105], v[94:95]
	v_fma_f64 v[160:161], v[160:161], v[20:21], -v[238:239]
	v_fma_f64 v[162:163], v[162:163], v[20:21], v[14:15]
	v_fma_f64 v[134:135], v[148:149], v[40:41], -v[134:135]
	v_fma_f64 v[42:43], v[150:151], v[40:41], v[42:43]
	s_waitcnt vmcnt(3)
	v_mul_f64 v[148:149], v[12:13], v[90:91]
	v_mul_f64 v[90:91], v[10:11], v[90:91]
	s_waitcnt vmcnt(2)
	v_mul_f64 v[150:151], v[118:119], v[86:87]
	v_fma_f64 v[156:157], v[156:157], v[76:77], -v[218:219]
	v_fma_f64 v[76:77], v[158:159], v[76:77], v[78:79]
	v_mul_f64 v[78:79], v[116:117], v[86:87]
	s_waitcnt vmcnt(1) lgkmcnt(2)
	v_mul_f64 v[86:87], v[122:123], v[82:83]
	s_waitcnt vmcnt(0) lgkmcnt(1)
	v_mul_f64 v[158:159], v[24:25], v[98:99]
	v_fma_f64 v[164:165], v[164:165], v[72:73], -v[34:35]
	v_fma_f64 v[72:73], v[166:167], v[72:73], v[74:75]
	v_mul_f64 v[74:75], v[22:23], v[98:99]
	v_mul_f64 v[82:83], v[120:121], v[82:83]
	v_fma_f64 v[192:193], v[192:193], v[36:37], v[38:39]
	ds_load_b128 v[14:17], v233
	ds_load_b128 v[18:21], v181
	;; [unrolled: 1-line block ×3, first 2 shown]
	v_fma_f64 v[66:67], v[196:197], v[64:65], v[66:67]
	v_add_co_u32 v166, s0, 0x15e0, v180
	v_fma_f64 v[98:99], v[186:187], v[68:69], -v[204:205]
	v_fma_f64 v[68:69], v[188:189], v[68:69], v[70:71]
	v_fma_f64 v[70:71], v[194:195], v[64:65], -v[220:221]
	v_fma_f64 v[6:7], v[6:7], v[44:45], -v[224:225]
	v_fma_f64 v[8:9], v[8:9], v[44:45], v[46:47]
	v_fma_f64 v[44:45], v[112:113], v[60:61], -v[226:227]
	v_fma_f64 v[46:47], v[114:115], v[60:61], v[228:229]
	ds_load_b128 v[38:41], v232 offset:3840
	ds_load_b128 v[62:65], v232 offset:4800
	v_add_f64 v[114:115], v[124:125], v[140:141]
	v_fma_f64 v[100:101], v[100:101], v[52:53], -v[222:223]
	v_fma_f64 v[52:53], v[102:103], v[52:53], v[54:55]
	v_add_f64 v[102:103], v[212:213], v[136:137]
	v_fma_f64 v[30:31], v[30:31], v[48:49], -v[230:231]
	v_fma_f64 v[32:33], v[32:33], v[48:49], v[50:51]
	v_fma_f64 v[48:49], v[198:199], v[56:57], -v[216:217]
	v_fma_f64 v[50:51], v[200:201], v[56:57], v[58:59]
	;; [unrolled: 2-line block ×3, first 2 shown]
	s_waitcnt lgkmcnt(5)
	v_add_f64 v[92:93], v[26:27], v[206:207]
	v_add_f64 v[94:95], v[28:29], v[208:209]
	;; [unrolled: 1-line block ×3, first 2 shown]
	v_fma_f64 v[10:11], v[10:11], v[88:89], -v[148:149]
	v_fma_f64 v[12:13], v[12:13], v[88:89], v[90:91]
	v_fma_f64 v[58:59], v[116:117], v[84:85], -v[150:151]
	v_add_f64 v[88:89], v[152:153], v[168:169]
	v_add_f64 v[90:91], v[154:155], v[170:171]
	v_fma_f64 v[60:61], v[118:119], v[84:85], v[78:79]
	v_fma_f64 v[78:79], v[120:121], v[80:81], -v[86:87]
	v_fma_f64 v[22:23], v[22:23], v[96:97], -v[158:159]
	v_add_f64 v[84:85], v[210:211], v[132:133]
	v_add_f64 v[86:87], v[240:241], v[4:5]
	v_fma_f64 v[24:25], v[24:25], v[96:97], v[74:75]
	v_add_f64 v[74:75], v[206:207], v[128:129]
	v_fma_f64 v[80:81], v[122:123], v[80:81], v[82:83]
	v_add_f64 v[82:83], v[208:209], v[130:131]
	v_add_f64 v[96:97], v[175:176], v[212:213]
	;; [unrolled: 1-line block ×3, first 2 shown]
	s_waitcnt lgkmcnt(4)
	v_add_f64 v[110:111], v[16:17], v[240:241]
	v_add_f64 v[188:189], v[126:127], v[142:143]
	v_add_co_ci_u32_e64 v167, s0, 0, v184, s0
	v_lshl_add_u32 v180, v108, 4, 0
	v_lshl_add_u32 v184, v109, 4, 0
	v_add_f64 v[108:109], v[14:15], v[210:211]
	v_add_f64 v[112:113], v[202:203], v[124:125]
	;; [unrolled: 1-line block ×3, first 2 shown]
	s_waitcnt lgkmcnt(3)
	v_add_f64 v[120:121], v[20:21], v[154:155]
	v_add_f64 v[186:187], v[212:213], -v[136:137]
	v_add_f64 v[204:205], v[160:161], v[190:191]
	v_add_f64 v[212:213], v[162:163], v[192:193]
	;; [unrolled: 1-line block ×4, first 2 shown]
	s_waitcnt lgkmcnt(1)
	v_add_f64 v[226:227], v[38:39], v[6:7]
	v_add_f64 v[228:229], v[40:41], v[8:9]
	;; [unrolled: 1-line block ×5, first 2 shown]
	v_add_f64 v[196:197], v[240:241], -v[4:5]
	v_add_f64 v[198:199], v[210:211], -v[132:133]
	v_add_f64 v[210:211], v[8:9], v[32:33]
	s_waitcnt lgkmcnt(0)
	v_add_f64 v[240:241], v[62:63], v[10:11]
	v_add_f64 v[194:195], v[214:215], -v[138:139]
	v_add_f64 v[150:151], v[208:209], -v[130:131]
	v_fma_f64 v[20:21], v[90:91], -0.5, v[20:21]
	v_add_f64 v[90:91], v[92:93], v[128:129]
	v_add_f64 v[244:245], v[10:11], -v[78:79]
	v_add_f64 v[158:159], v[206:207], -v[128:129]
	v_fma_f64 v[14:15], v[84:85], -0.5, v[14:15]
	v_fma_f64 v[16:17], v[86:87], -0.5, v[16:17]
	v_add_f64 v[84:85], v[8:9], -v[32:33]
	v_add_f64 v[8:9], v[54:55], v[58:59]
	v_fma_f64 v[86:87], v[88:89], -0.5, v[18:19]
	v_add_f64 v[18:19], v[58:59], v[22:23]
	v_add_f64 v[88:89], v[56:57], v[60:61]
	;; [unrolled: 1-line block ×3, first 2 shown]
	v_fma_f64 v[26:27], v[74:75], -0.5, v[26:27]
	v_add_f64 v[74:75], v[10:11], v[78:79]
	v_add_f64 v[10:11], v[94:95], v[130:131]
	v_fma_f64 v[94:95], v[102:103], -0.5, v[175:176]
	v_fma_f64 v[102:103], v[106:107], -0.5, v[178:179]
	v_add_f64 v[200:201], v[144:145], v[160:161]
	v_add_f64 v[208:209], v[6:7], v[30:31]
	v_add_f64 v[124:125], v[124:125], -v[140:141]
	v_add_f64 v[126:127], v[126:127], -v[142:143]
	v_fma_f64 v[28:29], v[82:83], -0.5, v[28:29]
	v_add_f64 v[82:83], v[64:65], v[12:13]
	v_add_f64 v[242:243], v[6:7], -v[30:31]
	v_add_f64 v[6:7], v[12:13], v[80:81]
	v_add_f64 v[128:129], v[12:13], -v[80:81]
	v_add_f64 v[12:13], v[96:97], v[136:137]
	v_add_f64 v[96:97], v[104:105], v[138:139]
	;; [unrolled: 1-line block ×3, first 2 shown]
	v_fma_f64 v[110:111], v[114:115], -0.5, v[202:203]
	v_fma_f64 v[0:1], v[188:189], -0.5, v[0:1]
	v_add_f64 v[122:123], v[156:157], v[98:99]
	v_add_f64 v[206:207], v[146:147], v[162:163]
	v_add_f64 v[162:163], v[162:163], -v[192:193]
	v_add_f64 v[160:161], v[160:161], -v[190:191]
	v_add_f64 v[104:105], v[108:109], v[132:133]
	v_add_f64 v[108:109], v[112:113], v[140:141]
	;; [unrolled: 1-line block ×4, first 2 shown]
	v_fma_f64 v[120:121], v[204:205], -0.5, v[144:145]
	v_fma_f64 v[130:131], v[212:213], -0.5, v[146:147]
	v_add_f64 v[214:215], v[34:35], v[156:157]
	v_add_f64 v[216:217], v[36:37], v[76:77]
	v_add_f64 v[154:155], v[154:155], -v[170:171]
	v_add_f64 v[218:219], v[134:135], v[164:165]
	v_add_f64 v[222:223], v[42:43], v[72:73]
	v_add_f64 v[164:165], v[164:165], -v[70:71]
	v_add_f64 v[72:73], v[72:73], -v[66:67]
	v_fma_f64 v[132:133], v[220:221], -0.5, v[134:135]
	v_fma_f64 v[42:43], v[224:225], -0.5, v[42:43]
	v_add_f64 v[148:149], v[76:77], v[68:69]
	v_add_f64 v[152:153], v[152:153], -v[168:169]
	v_add_f64 v[230:231], v[100:101], v[44:45]
	v_add_f64 v[236:237], v[52:53], v[46:47]
	v_add_f64 v[44:45], v[44:45], -v[48:49]
	v_add_f64 v[46:47], v[46:47], -v[50:51]
	v_add_f64 v[134:135], v[226:227], v[30:31]
	v_add_f64 v[136:137], v[228:229], v[32:33]
	v_fma_f64 v[30:31], v[234:235], -0.5, v[100:101]
	v_fma_f64 v[32:33], v[238:239], -0.5, v[52:53]
	v_add_f64 v[60:61], v[60:61], -v[24:25]
	v_add_f64 v[58:59], v[58:59], -v[22:23]
	v_add_f64 v[52:53], v[240:241], v[78:79]
	v_add_f64 v[78:79], v[8:9], v[22:23]
	v_fma_f64 v[22:23], v[18:19], -0.5, v[54:55]
	v_add_f64 v[54:55], v[88:89], v[24:25]
	v_fma_f64 v[24:25], v[92:93], -0.5, v[56:57]
	v_fma_f64 v[56:57], v[186:187], s[2:3], v[102:103]
	v_fma_f64 v[100:101], v[194:195], s[6:7], v[94:95]
	;; [unrolled: 1-line block ×4, first 2 shown]
	v_add_f64 v[114:115], v[118:119], v[168:169]
	v_add_f64 v[118:119], v[200:201], v[190:191]
	v_fma_f64 v[64:65], v[6:7], -0.5, v[64:65]
	v_add_f64 v[6:7], v[10:11], v[96:97]
	v_add_f64 v[10:11], v[10:11], -v[96:97]
	v_fma_f64 v[96:97], v[124:125], s[2:3], v[0:1]
	v_fma_f64 v[140:141], v[126:127], s[2:3], v[110:111]
	;; [unrolled: 1-line block ×3, first 2 shown]
	v_fma_f64 v[34:35], v[122:123], -0.5, v[34:35]
	v_add_f64 v[122:123], v[206:207], v[192:193]
	v_fma_f64 v[0:1], v[124:125], s[6:7], v[0:1]
	v_add_f64 v[76:77], v[76:77], -v[68:69]
	v_fma_f64 v[142:143], v[160:161], s[2:3], v[130:131]
	v_fma_f64 v[144:145], v[162:163], s[2:3], v[120:121]
	;; [unrolled: 1-line block ×4, first 2 shown]
	v_add_f64 v[156:157], v[156:157], -v[98:99]
	v_add_f64 v[98:99], v[214:215], v[98:99]
	v_add_f64 v[68:69], v[216:217], v[68:69]
	;; [unrolled: 1-line block ×5, first 2 shown]
	v_add_f64 v[8:9], v[90:91], -v[12:13]
	v_fma_f64 v[90:91], v[196:197], s[6:7], v[14:15]
	v_fma_f64 v[138:139], v[196:197], s[2:3], v[14:15]
	;; [unrolled: 1-line block ×4, first 2 shown]
	v_add_f64 v[12:13], v[104:105], v[108:109]
	v_add_f64 v[14:15], v[106:107], v[112:113]
	v_add_f64 v[16:17], v[104:105], -v[108:109]
	v_add_f64 v[18:19], v[106:107], -v[112:113]
	v_fma_f64 v[104:105], v[154:155], s[6:7], v[86:87]
	v_fma_f64 v[106:107], v[154:155], s[2:3], v[86:87]
	;; [unrolled: 1-line block ×6, first 2 shown]
	v_fma_f64 v[36:37], v[148:149], -0.5, v[36:37]
	v_fma_f64 v[38:39], v[208:209], -0.5, v[38:39]
	v_fma_f64 v[132:133], v[152:153], s[2:3], v[20:21]
	v_fma_f64 v[146:147], v[152:153], s[6:7], v[20:21]
	;; [unrolled: 1-line block ×4, first 2 shown]
	v_fma_f64 v[62:63], v[74:75], -0.5, v[62:63]
	v_add_f64 v[74:75], v[82:83], v[80:81]
	v_fma_f64 v[80:81], v[150:151], s[6:7], v[26:27]
	v_fma_f64 v[82:83], v[150:151], s[2:3], v[26:27]
	;; [unrolled: 1-line block ×10, first 2 shown]
	v_mul_f64 v[42:43], v[56:57], s[6:7]
	v_mul_f64 v[46:47], v[100:101], s[2:3]
	v_mul_f64 v[44:45], v[94:95], -0.5
	v_mul_f64 v[162:163], v[102:103], -0.5
	v_add_f64 v[20:21], v[114:115], v[118:119]
	v_add_f64 v[24:25], v[114:115], -v[118:119]
	v_mul_f64 v[114:115], v[96:97], s[6:7]
	v_mul_f64 v[118:119], v[110:111], s[2:3]
	v_add_f64 v[22:23], v[116:117], v[122:123]
	v_add_f64 v[26:27], v[116:117], -v[122:123]
	v_mul_f64 v[116:117], v[140:141], -0.5
	v_mul_f64 v[122:123], v[0:1], -0.5
	v_fma_f64 v[164:165], v[76:77], s[6:7], v[34:35]
	v_fma_f64 v[168:169], v[76:77], s[2:3], v[34:35]
	v_mul_f64 v[76:77], v[142:143], s[6:7]
	v_mul_f64 v[178:179], v[120:121], s[2:3]
	v_mul_f64 v[175:176], v[144:145], -0.5
	v_mul_f64 v[186:187], v[130:131], -0.5
	v_add_f64 v[28:29], v[98:99], v[70:71]
	v_add_f64 v[30:31], v[68:69], v[66:67]
	v_add_f64 v[32:33], v[98:99], -v[70:71]
	v_add_f64 v[34:35], v[68:69], -v[66:67]
	v_mul_f64 v[66:67], v[86:87], s[6:7]
	v_mul_f64 v[70:71], v[72:73], s[2:3]
	v_fma_f64 v[40:41], v[210:211], -0.5, v[40:41]
	v_add_f64 v[48:49], v[230:231], v[48:49]
	v_mul_f64 v[68:69], v[108:109], -0.5
	v_mul_f64 v[98:99], v[112:113], -0.5
	v_add_f64 v[50:51], v[236:237], v[50:51]
	v_fma_f64 v[188:189], v[84:85], s[6:7], v[38:39]
	v_fma_f64 v[190:191], v[84:85], s[2:3], v[38:39]
	v_mul_f64 v[84:85], v[148:149], s[6:7]
	v_mul_f64 v[194:195], v[152:153], s[2:3]
	v_mul_f64 v[192:193], v[150:151], -0.5
	v_mul_f64 v[196:197], v[154:155], -0.5
	v_mul_f64 v[198:199], v[158:159], s[6:7]
	v_mul_f64 v[202:203], v[60:61], s[2:3]
	v_mul_f64 v[200:201], v[160:161], -0.5
	v_mul_f64 v[204:205], v[58:59], -0.5
	v_fma_f64 v[100:101], v[100:101], 0.5, v[42:43]
	v_fma_f64 v[206:207], v[56:57], 0.5, v[46:47]
	v_fma_f64 v[102:103], v[102:103], s[6:7], v[44:45]
	v_fma_f64 v[94:95], v[94:95], s[2:3], v[162:163]
	;; [unrolled: 1-line block ×3, first 2 shown]
	v_fma_f64 v[110:111], v[110:111], 0.5, v[114:115]
	v_fma_f64 v[96:97], v[96:97], 0.5, v[118:119]
	v_fma_f64 v[210:211], v[128:129], s[2:3], v[62:63]
	v_fma_f64 v[156:157], v[156:157], s[6:7], v[36:37]
	;; [unrolled: 1-line block ×5, first 2 shown]
	v_add_f64 v[44:45], v[52:53], v[78:79]
	v_fma_f64 v[116:117], v[120:121], 0.5, v[76:77]
	v_fma_f64 v[120:121], v[142:143], 0.5, v[178:179]
	v_fma_f64 v[118:119], v[130:131], s[6:7], v[175:176]
	v_fma_f64 v[122:123], v[144:145], s[2:3], v[186:187]
	;; [unrolled: 1-line block ×4, first 2 shown]
	v_add_f64 v[46:47], v[74:75], v[54:55]
	v_fma_f64 v[128:129], v[72:73], 0.5, v[66:67]
	v_fma_f64 v[130:131], v[86:87], 0.5, v[70:71]
	v_fma_f64 v[162:163], v[242:243], s[2:3], v[40:41]
	v_fma_f64 v[208:209], v[242:243], s[6:7], v[40:41]
	v_add_f64 v[36:37], v[134:135], v[48:49]
	v_add_f64 v[40:41], v[134:135], -v[48:49]
	v_fma_f64 v[112:113], v[112:113], s[6:7], v[68:69]
	v_fma_f64 v[134:135], v[108:109], s[2:3], v[98:99]
	v_add_f64 v[38:39], v[136:137], v[50:51]
	v_add_f64 v[42:43], v[136:137], -v[50:51]
	v_fma_f64 v[136:137], v[152:153], 0.5, v[84:85]
	v_fma_f64 v[148:149], v[148:149], 0.5, v[194:195]
	v_fma_f64 v[144:145], v[154:155], s[6:7], v[192:193]
	v_fma_f64 v[150:151], v[150:151], s[2:3], v[196:197]
	v_fma_f64 v[152:153], v[60:61], 0.5, v[198:199]
	v_fma_f64 v[158:159], v[158:159], 0.5, v[202:203]
	v_fma_f64 v[154:155], v[58:59], s[6:7], v[200:201]
	v_fma_f64 v[160:161], v[160:161], s[2:3], v[204:205]
	v_add_f64 v[48:49], v[52:53], -v[78:79]
	v_add_f64 v[50:51], v[74:75], -v[54:55]
	v_add_f64 v[52:53], v[80:81], v[100:101]
	v_add_f64 v[54:55], v[88:89], v[206:207]
	v_add_f64 v[56:57], v[82:83], v[102:103]
	v_add_f64 v[58:59], v[92:93], v[94:95]
	v_add_f64 v[60:61], v[80:81], -v[100:101]
	v_add_f64 v[62:63], v[88:89], -v[206:207]
	v_add_f64 v[64:65], v[82:83], -v[102:103]
	v_add_f64 v[66:67], v[92:93], -v[94:95]
	v_add_f64 v[68:69], v[90:91], v[110:111]
	v_add_f64 v[70:71], v[124:125], v[96:97]
	v_add_f64 v[72:73], v[138:139], v[0:1]
	v_add_f64 v[74:75], v[126:127], v[114:115]
	v_add_f64 v[76:77], v[90:91], -v[110:111]
	v_add_f64 v[78:79], v[124:125], -v[96:97]
	;; [unrolled: 8-line block ×6, first 2 shown]
	v_add_f64 v[144:145], v[210:211], -v[154:155]
	v_add_f64 v[146:147], v[175:176], -v[160:161]
	s_barrier
	buffer_gl0_inv
	ds_store_b128 v232, v[4:7]
	ds_store_b128 v232, v[52:55] offset:960
	ds_store_b128 v232, v[8:11] offset:2880
	;; [unrolled: 1-line block ×35, first 2 shown]
	v_add_co_u32 v4, s0, s4, v173
	s_delay_alu instid0(VALU_DEP_1) | instskip(SKIP_1) | instid1(VALU_DEP_2)
	v_add_co_ci_u32_e64 v5, s0, s5, v174, s0
	s_waitcnt lgkmcnt(0)
	v_add_co_u32 v0, s0, 0x1000, v4
	s_delay_alu instid0(VALU_DEP_1)
	v_add_co_ci_u32_e64 v1, s0, 0, v5, s0
	s_barrier
	buffer_gl0_inv
	s_clause 0x5
	global_load_b128 v[60:63], v[2:3], off offset:1504
	global_load_b128 v[68:71], v[166:167], off offset:16
	;; [unrolled: 1-line block ×6, first 2 shown]
	v_add_co_u32 v2, s0, 0x15e0, v4
	v_mul_i32_i24_e32 v184, 5, v183
	v_add_co_ci_u32_e64 v3, s0, 0, v5, s0
	s_clause 0x1
	global_load_b128 v[114:117], v[2:3], off offset:16
	global_load_b128 v[120:123], v[2:3], off offset:32
	v_lshlrev_b64 v[4:5], 4, v[184:185]
	global_load_b128 v[168:171], v[2:3], off offset:48
	v_mul_i32_i24_e32 v184, 5, v182
	v_mul_u32_u24_e32 v6, 5, v248
	v_add_co_u32 v4, s0, s4, v4
	s_delay_alu instid0(VALU_DEP_1) | instskip(NEXT) | instid1(VALU_DEP_3)
	v_add_co_ci_u32_e64 v5, s0, s5, v5, s0
	v_lshlrev_b32_e32 v6, 4, v6
	s_delay_alu instid0(VALU_DEP_3) | instskip(NEXT) | instid1(VALU_DEP_1)
	v_add_co_u32 v2, s0, 0x1000, v4
	v_add_co_ci_u32_e64 v3, s0, 0, v5, s0
	s_clause 0x1
	global_load_b128 v[48:51], v[0:1], off offset:1568
	global_load_b128 v[44:47], v[2:3], off offset:1504
	v_add_co_u32 v0, s0, 0x15e0, v4
	s_delay_alu instid0(VALU_DEP_1)
	v_add_co_ci_u32_e64 v1, s0, 0, v5, s0
	v_lshlrev_b64 v[4:5], 4, v[184:185]
	s_clause 0x3
	global_load_b128 v[92:95], v[2:3], off offset:1568
	global_load_b128 v[110:113], v[0:1], off offset:16
	;; [unrolled: 1-line block ×4, first 2 shown]
	v_add_co_u32 v4, s0, s4, v4
	s_delay_alu instid0(VALU_DEP_1) | instskip(NEXT) | instid1(VALU_DEP_2)
	v_add_co_ci_u32_e64 v5, s0, s5, v5, s0
	v_add_co_u32 v0, s0, 0x1000, v4
	s_delay_alu instid0(VALU_DEP_1) | instskip(SKIP_1) | instid1(VALU_DEP_1)
	v_add_co_ci_u32_e64 v1, s0, 0, v5, s0
	v_add_co_u32 v2, s0, 0x15e0, v4
	v_add_co_ci_u32_e64 v3, s0, 0, v5, s0
	s_clause 0x1
	global_load_b128 v[96:99], v[0:1], off offset:1504
	global_load_b128 v[84:87], v[2:3], off offset:16
	v_add_co_u32 v24, s0, s4, v6
	s_delay_alu instid0(VALU_DEP_1) | instskip(SKIP_4) | instid1(VALU_DEP_1)
	v_add_co_ci_u32_e64 v25, null, s5, 0, s0
	s_clause 0x1
	global_load_b128 v[64:67], v[2:3], off offset:32
	global_load_b128 v[56:59], v[2:3], off offset:48
	v_add_co_u32 v16, s0, 0x1000, v24
	v_add_co_ci_u32_e64 v17, s0, 0, v25, s0
	v_add_co_u32 v18, s0, 0x15e0, v24
	s_delay_alu instid0(VALU_DEP_1) | instskip(SKIP_1) | instid1(VALU_DEP_1)
	v_add_co_ci_u32_e64 v19, s0, 0, v25, s0
	v_add_co_u32 v40, s0, 0x2000, v24
	v_add_co_ci_u32_e64 v41, s0, 0, v25, s0
	v_add_co_u32 v28, s0, 0x28a0, v24
	s_clause 0x3
	global_load_b128 v[4:7], v[0:1], off offset:1568
	global_load_b128 v[0:3], v[16:17], off offset:1504
	;; [unrolled: 1-line block ×4, first 2 shown]
	v_add_co_ci_u32_e64 v29, s0, 0, v25, s0
	s_clause 0x6
	global_load_b128 v[20:23], v[18:19], off offset:48
	global_load_b128 v[16:19], v[16:17], off offset:1568
	;; [unrolled: 1-line block ×7, first 2 shown]
	ds_load_b128 v[72:75], v232 offset:5760
	ds_load_b128 v[188:191], v232 offset:11520
	;; [unrolled: 1-line block ×20, first 2 shown]
	s_waitcnt vmcnt(29) lgkmcnt(19)
	v_mul_f64 v[108:109], v[74:75], v[62:63]
	s_waitcnt vmcnt(28) lgkmcnt(18)
	v_mul_f64 v[118:119], v[190:191], v[70:71]
	v_mul_f64 v[70:71], v[188:189], v[70:71]
	s_waitcnt vmcnt(27) lgkmcnt(17)
	v_mul_f64 v[173:174], v[194:195], v[82:83]
	;; [unrolled: 3-line block ×3, first 2 shown]
	s_waitcnt vmcnt(25) lgkmcnt(15)
	v_mul_f64 v[178:179], v[210:211], v[166:167]
	s_waitcnt vmcnt(24) lgkmcnt(14)
	v_mul_f64 v[246:247], v[230:231], v[90:91]
	v_mul_f64 v[90:91], v[228:229], v[90:91]
	;; [unrolled: 1-line block ×4, first 2 shown]
	s_waitcnt vmcnt(23) lgkmcnt(12)
	v_mul_f64 v[248:249], v[236:237], v[116:117]
	v_mul_f64 v[116:117], v[234:235], v[116:117]
	;; [unrolled: 1-line block ×3, first 2 shown]
	s_waitcnt vmcnt(21)
	v_mul_f64 v[252:253], v[244:245], v[170:171]
	v_mul_f64 v[254:255], v[242:243], v[170:171]
	s_waitcnt lgkmcnt(11)
	v_mul_f64 v[250:251], v[240:241], v[122:123]
	v_mul_f64 v[122:123], v[238:239], v[122:123]
	s_waitcnt vmcnt(20) lgkmcnt(10)
	v_mul_f64 v[212:213], v[134:135], v[50:51]
	v_mul_f64 v[214:215], v[132:133], v[50:51]
	s_waitcnt vmcnt(19) lgkmcnt(9)
	;; [unrolled: 3-line block ×4, first 2 shown]
	v_mul_f64 v[220:221], v[154:155], v[106:107]
	v_mul_f64 v[222:223], v[152:153], v[106:107]
	v_fma_f64 v[198:199], v[188:189], v[68:69], -v[118:119]
	v_fma_f64 v[196:197], v[190:191], v[68:69], v[70:71]
	v_fma_f64 v[200:201], v[192:193], v[80:81], -v[173:174]
	v_fma_f64 v[202:203], v[194:195], v[80:81], v[82:83]
	v_fma_f64 v[46:47], v[204:205], v[76:77], -v[175:176]
	v_fma_f64 v[194:195], v[208:209], v[164:165], -v[178:179]
	v_fma_f64 v[190:191], v[228:229], v[88:89], -v[246:247]
	v_fma_f64 v[188:189], v[230:231], v[88:89], v[90:91]
	s_waitcnt vmcnt(15) lgkmcnt(3)
	v_mul_f64 v[173:174], v[158:159], v[102:103]
	v_mul_f64 v[175:176], v[156:157], v[102:103]
	s_waitcnt lgkmcnt(1)
	v_mul_f64 v[178:179], v[162:163], v[94:95]
	v_mul_f64 v[228:229], v[160:161], v[94:95]
	v_fma_f64 v[102:103], v[242:243], v[168:169], -v[252:253]
	v_fma_f64 v[94:95], v[244:245], v[168:169], v[254:255]
	s_waitcnt vmcnt(14)
	v_mul_f64 v[168:169], v[142:143], v[98:99]
	v_mul_f64 v[230:231], v[140:141], v[98:99]
	v_fma_f64 v[186:187], v[72:73], v[60:61], -v[108:109]
	v_fma_f64 v[170:171], v[74:75], v[60:61], v[62:63]
	ds_load_b128 v[60:63], v232 offset:32640
	ds_load_b128 v[72:75], v232 offset:9600
	;; [unrolled: 1-line block ×3, first 2 shown]
	v_fma_f64 v[50:51], v[206:207], v[76:77], v[78:79]
	ds_load_b128 v[80:83], v232 offset:15360
	ds_load_b128 v[76:79], v232 offset:16320
	;; [unrolled: 1-line block ×4, first 2 shown]
	v_fma_f64 v[206:207], v[234:235], v[114:115], -v[248:249]
	v_fma_f64 v[204:205], v[236:237], v[114:115], v[116:117]
	ds_load_b128 v[116:119], v232 offset:26880
	ds_load_b128 v[112:115], v232 offset:27840
	v_fma_f64 v[192:193], v[210:211], v[164:165], v[166:167]
	v_fma_f64 v[210:211], v[238:239], v[120:121], -v[250:251]
	v_fma_f64 v[208:209], v[240:241], v[120:121], v[122:123]
	ds_load_b128 v[120:123], v232 offset:33600
	ds_load_b128 v[164:167], v232
	v_fma_f64 v[132:133], v[132:133], v[48:49], -v[212:213]
	v_fma_f64 v[98:99], v[134:135], v[48:49], v[214:215]
	s_waitcnt vmcnt(12)
	v_mul_f64 v[212:213], v[130:131], v[66:67]
	v_mul_f64 v[66:67], v[128:129], v[66:67]
	v_fma_f64 v[48:49], v[136:137], v[44:45], -v[216:217]
	v_fma_f64 v[44:45], v[138:139], v[44:45], v[218:219]
	s_waitcnt vmcnt(10) lgkmcnt(11)
	v_mul_f64 v[138:139], v[54:55], v[6:7]
	v_mul_f64 v[6:7], v[52:53], v[6:7]
	s_waitcnt vmcnt(9) lgkmcnt(9)
	v_mul_f64 v[216:217], v[74:75], v[2:3]
	v_fma_f64 v[148:149], v[148:149], v[110:111], -v[224:225]
	v_fma_f64 v[110:111], v[150:151], v[110:111], v[226:227]
	v_mul_f64 v[2:3], v[72:73], v[2:3]
	s_waitcnt vmcnt(8) lgkmcnt(7)
	v_mul_f64 v[150:151], v[82:83], v[14:15]
	v_mul_f64 v[14:15], v[80:81], v[14:15]
	s_waitcnt vmcnt(7) lgkmcnt(5)
	v_mul_f64 v[218:219], v[90:91], v[10:11]
	v_fma_f64 v[152:153], v[152:153], v[104:105], -v[220:221]
	v_fma_f64 v[104:105], v[154:155], v[104:105], v[222:223]
	v_mul_f64 v[10:11], v[88:89], v[10:11]
	s_waitcnt vmcnt(6) lgkmcnt(3)
	v_mul_f64 v[154:155], v[118:119], v[22:23]
	v_mul_f64 v[22:23], v[116:117], v[22:23]
	s_waitcnt vmcnt(5)
	v_mul_f64 v[220:221], v[62:63], v[18:19]
	v_mul_f64 v[18:19], v[60:61], v[18:19]
	v_fma_f64 v[156:157], v[156:157], v[100:101], -v[173:174]
	v_fma_f64 v[100:101], v[158:159], v[100:101], v[175:176]
	s_waitcnt vmcnt(4)
	v_mul_f64 v[158:159], v[70:71], v[26:27]
	v_mul_f64 v[26:27], v[68:69], v[26:27]
	s_waitcnt vmcnt(3)
	v_mul_f64 v[173:174], v[78:79], v[38:39]
	v_fma_f64 v[160:161], v[160:161], v[92:93], -v[178:179]
	v_fma_f64 v[92:93], v[162:163], v[92:93], v[228:229]
	v_mul_f64 v[38:39], v[76:77], v[38:39]
	s_waitcnt vmcnt(2)
	v_mul_f64 v[162:163], v[108:109], v[34:35]
	v_mul_f64 v[34:35], v[106:107], v[34:35]
	s_waitcnt vmcnt(1) lgkmcnt(2)
	v_mul_f64 v[175:176], v[114:115], v[30:31]
	v_fma_f64 v[140:141], v[140:141], v[96:97], -v[168:169]
	v_fma_f64 v[96:97], v[142:143], v[96:97], v[230:231]
	v_mul_f64 v[30:31], v[112:113], v[30:31]
	s_waitcnt vmcnt(0) lgkmcnt(1)
	v_mul_f64 v[142:143], v[122:123], v[42:43]
	v_mul_f64 v[42:43], v[120:121], v[42:43]
	;; [unrolled: 1-line block ×6, first 2 shown]
	v_fma_f64 v[128:129], v[128:129], v[64:65], -v[212:213]
	v_fma_f64 v[130:131], v[130:131], v[64:65], v[66:67]
	v_fma_f64 v[52:53], v[52:53], v[4:5], -v[138:139]
	v_fma_f64 v[4:5], v[54:55], v[4:5], v[6:7]
	v_fma_f64 v[6:7], v[72:73], v[0:1], -v[216:217]
	v_add_f64 v[54:55], v[196:197], v[50:51]
	s_waitcnt lgkmcnt(0)
	v_add_f64 v[72:73], v[164:165], v[198:199]
	v_fma_f64 v[0:1], v[74:75], v[0:1], v[2:3]
	v_fma_f64 v[2:3], v[80:81], v[12:13], -v[150:151]
	v_fma_f64 v[12:13], v[82:83], v[12:13], v[14:15]
	v_fma_f64 v[14:15], v[88:89], v[8:9], -v[218:219]
	v_add_f64 v[82:83], v[202:203], v[192:193]
	v_add_f64 v[80:81], v[170:171], v[202:203]
	v_fma_f64 v[8:9], v[90:91], v[8:9], v[10:11]
	v_fma_f64 v[10:11], v[116:117], v[20:21], -v[154:155]
	v_fma_f64 v[20:21], v[118:119], v[20:21], v[22:23]
	v_fma_f64 v[22:23], v[60:61], v[16:17], -v[220:221]
	v_fma_f64 v[16:17], v[62:63], v[16:17], v[18:19]
	v_add_f64 v[60:61], v[206:207], v[102:103]
	v_add_f64 v[62:63], v[204:205], v[94:95]
	v_fma_f64 v[18:19], v[68:69], v[24:25], -v[158:159]
	v_fma_f64 v[24:25], v[70:71], v[24:25], v[26:27]
	v_fma_f64 v[26:27], v[76:77], v[36:37], -v[173:174]
	v_add_f64 v[68:69], v[148:149], v[156:157]
	v_add_f64 v[70:71], v[110:111], v[100:101]
	v_fma_f64 v[36:37], v[78:79], v[36:37], v[38:39]
	v_fma_f64 v[38:39], v[106:107], v[32:33], -v[162:163]
	v_fma_f64 v[32:33], v[108:109], v[32:33], v[34:35]
	v_fma_f64 v[34:35], v[112:113], v[28:29], -v[175:176]
	v_add_f64 v[78:79], v[200:201], v[194:195]
	v_add_f64 v[76:77], v[186:187], v[200:201]
	v_fma_f64 v[28:29], v[114:115], v[28:29], v[30:31]
	v_fma_f64 v[30:31], v[120:121], v[40:41], -v[142:143]
	v_fma_f64 v[40:41], v[122:123], v[40:41], v[42:43]
	v_add_f64 v[42:43], v[198:199], v[46:47]
	v_fma_f64 v[144:145], v[144:145], v[84:85], -v[234:235]
	v_fma_f64 v[146:147], v[146:147], v[84:85], v[86:87]
	ds_load_b128 v[84:87], v233
	ds_load_b128 v[134:137], v181
	;; [unrolled: 1-line block ×3, first 2 shown]
	v_fma_f64 v[168:169], v[124:125], v[56:57], -v[214:215]
	v_fma_f64 v[178:179], v[126:127], v[56:57], v[58:59]
	ds_load_b128 v[56:59], v232 offset:3840
	ds_load_b128 v[124:127], v232 offset:4800
	v_add_f64 v[114:115], v[210:211], v[132:133]
	v_add_f64 v[138:139], v[208:209], v[98:99]
	;; [unrolled: 1-line block ×4, first 2 shown]
	v_add_f64 v[150:151], v[202:203], -v[192:193]
	v_add_f64 v[175:176], v[152:153], v[160:161]
	v_add_f64 v[202:203], v[204:205], -v[94:95]
	v_add_f64 v[214:215], v[128:129], v[52:53]
	v_add_f64 v[218:219], v[130:131], v[4:5]
	;; [unrolled: 1-line block ×7, first 2 shown]
	s_waitcnt lgkmcnt(4)
	v_add_f64 v[108:109], v[86:87], v[204:205]
	v_add_f64 v[204:205], v[210:211], -v[132:133]
	v_add_f64 v[210:211], v[104:105], v[92:93]
	v_add_f64 v[88:89], v[84:85], v[206:207]
	s_waitcnt lgkmcnt(3)
	v_add_f64 v[118:119], v[136:137], v[110:111]
	s_waitcnt lgkmcnt(1)
	v_add_f64 v[222:223], v[58:59], v[12:13]
	v_add_f64 v[220:221], v[56:57], v[2:3]
	;; [unrolled: 1-line block ×3, first 2 shown]
	v_add_f64 v[244:245], v[2:3], -v[10:11]
	v_add_f64 v[248:249], v[14:15], -v[22:23]
	v_add_f64 v[116:117], v[134:135], v[148:149]
	v_add_f64 v[122:123], v[198:199], -v[46:47]
	v_add_f64 v[154:155], v[200:201], -v[194:195]
	v_add_f64 v[173:174], v[12:13], v[20:21]
	v_add_f64 v[2:3], v[38:39], v[30:31]
	s_waitcnt lgkmcnt(0)
	v_add_f64 v[234:235], v[124:125], v[26:27]
	v_fma_f64 v[14:15], v[42:43], -0.5, v[164:165]
	v_fma_f64 v[42:43], v[54:55], -0.5, v[166:167]
	v_add_f64 v[54:55], v[32:33], v[40:41]
	v_add_f64 v[236:237], v[26:27], v[34:35]
	;; [unrolled: 1-line block ×3, first 2 shown]
	v_add_f64 v[246:247], v[12:13], -v[20:21]
	v_add_f64 v[12:13], v[24:25], v[32:33]
	v_add_f64 v[250:251], v[26:27], -v[34:35]
	v_add_f64 v[26:27], v[32:33], -v[40:41]
	;; [unrolled: 1-line block ×3, first 2 shown]
	v_fma_f64 v[38:39], v[68:69], -0.5, v[134:135]
	v_add_f64 v[46:47], v[72:73], v[46:47]
	v_fma_f64 v[68:69], v[78:79], -0.5, v[186:187]
	v_fma_f64 v[72:73], v[82:83], -0.5, v[170:171]
	v_add_f64 v[90:91], v[144:145], v[168:169]
	v_add_f64 v[158:159], v[48:49], v[152:153]
	v_add_f64 v[208:209], v[208:209], -v[98:99]
	v_add_f64 v[216:217], v[96:97], v[130:131]
	v_add_f64 v[238:239], v[126:127], v[36:37]
	;; [unrolled: 1-line block ×3, first 2 shown]
	v_add_f64 v[164:165], v[8:9], -v[16:17]
	v_add_f64 v[166:167], v[36:37], -v[28:29]
	v_fma_f64 v[8:9], v[60:61], -0.5, v[84:85]
	v_fma_f64 v[36:37], v[62:63], -0.5, v[86:87]
	;; [unrolled: 1-line block ×3, first 2 shown]
	v_add_f64 v[62:63], v[76:77], v[194:195]
	v_add_f64 v[70:71], v[80:81], v[192:193]
	v_fma_f64 v[80:81], v[114:115], -0.5, v[190:191]
	v_fma_f64 v[84:85], v[138:139], -0.5, v[188:189]
	v_add_f64 v[142:143], v[196:197], -v[50:51]
	v_add_f64 v[196:197], v[206:207], -v[102:103]
	v_add_f64 v[206:207], v[44:45], v[104:105]
	v_add_f64 v[50:51], v[74:75], v[50:51]
	v_add_f64 v[152:153], v[152:153], -v[160:161]
	v_add_f64 v[104:105], v[104:105], -v[92:93]
	v_fma_f64 v[48:49], v[175:176], -0.5, v[48:49]
	v_fma_f64 v[44:45], v[210:211], -0.5, v[44:45]
	v_add_f64 v[106:107], v[146:147], v[178:179]
	v_add_f64 v[198:199], v[64:65], v[144:145]
	;; [unrolled: 1-line block ×3, first 2 shown]
	v_add_f64 v[110:111], v[110:111], -v[100:101]
	v_add_f64 v[212:213], v[140:141], v[128:129]
	v_add_f64 v[128:129], v[128:129], -v[52:53]
	v_add_f64 v[130:131], v[130:131], -v[4:5]
	v_add_f64 v[74:75], v[88:89], v[102:103]
	v_add_f64 v[78:79], v[112:113], v[132:133]
	v_add_f64 v[88:89], v[118:119], v[100:101]
	v_fma_f64 v[100:101], v[214:215], -0.5, v[140:141]
	v_fma_f64 v[96:97], v[218:219], -0.5, v[96:97]
	v_add_f64 v[76:77], v[108:109], v[94:95]
	v_add_f64 v[82:83], v[120:121], v[98:99]
	v_add_f64 v[148:149], v[148:149], -v[156:157]
	v_add_f64 v[108:109], v[222:223], v[20:21]
	v_fma_f64 v[20:21], v[226:227], -0.5, v[6:7]
	v_add_f64 v[114:115], v[228:229], v[16:17]
	v_fma_f64 v[16:17], v[230:231], -0.5, v[0:1]
	;; [unrolled: 2-line block ×3, first 2 shown]
	v_fma_f64 v[22:23], v[54:55], -0.5, v[24:25]
	v_add_f64 v[86:87], v[116:117], v[156:157]
	v_add_f64 v[116:117], v[234:235], v[34:35]
	v_fma_f64 v[138:139], v[122:123], s[2:3], v[42:43]
	v_fma_f64 v[34:35], v[154:155], s[2:3], v[72:73]
	;; [unrolled: 1-line block ×4, first 2 shown]
	v_add_f64 v[132:133], v[12:13], v[40:41]
	v_fma_f64 v[40:41], v[150:151], s[2:3], v[68:69]
	v_fma_f64 v[54:55], v[154:155], s[6:7], v[72:73]
	v_fma_f64 v[64:65], v[90:91], -0.5, v[64:65]
	v_add_f64 v[90:91], v[158:159], v[160:161]
	v_add_f64 v[102:103], v[216:217], v[4:5]
	;; [unrolled: 1-line block ×3, first 2 shown]
	v_add_f64 v[4:5], v[46:47], -v[62:63]
	v_fma_f64 v[46:47], v[204:205], s[2:3], v[84:85]
	v_fma_f64 v[62:63], v[208:209], s[6:7], v[80:81]
	v_add_f64 v[92:93], v[206:207], v[92:93]
	v_add_f64 v[2:3], v[50:51], v[70:71]
	v_add_f64 v[6:7], v[50:51], -v[70:71]
	v_fma_f64 v[50:51], v[208:209], s[2:3], v[80:81]
	v_fma_f64 v[68:69], v[204:205], s[6:7], v[84:85]
	v_add_f64 v[146:147], v[146:147], -v[178:179]
	v_fma_f64 v[134:135], v[142:143], s[6:7], v[14:15]
	v_fma_f64 v[136:137], v[142:143], s[2:3], v[14:15]
	;; [unrolled: 1-line block ×5, first 2 shown]
	v_add_f64 v[144:145], v[144:145], -v[168:169]
	v_fma_f64 v[66:67], v[106:107], -0.5, v[66:67]
	v_fma_f64 v[44:45], v[152:153], s[6:7], v[44:45]
	v_add_f64 v[94:95], v[198:199], v[168:169]
	v_add_f64 v[98:99], v[200:201], v[178:179]
	;; [unrolled: 1-line block ×3, first 2 shown]
	v_fma_f64 v[72:73], v[202:203], s[6:7], v[8:9]
	v_fma_f64 v[140:141], v[202:203], s[2:3], v[8:9]
	v_add_f64 v[8:9], v[74:75], v[78:79]
	v_add_f64 v[12:13], v[74:75], -v[78:79]
	v_fma_f64 v[74:75], v[128:129], s[2:3], v[96:97]
	v_fma_f64 v[78:79], v[130:131], s[6:7], v[100:101]
	v_add_f64 v[106:107], v[220:221], v[10:11]
	v_add_f64 v[10:11], v[76:77], v[82:83]
	v_add_f64 v[14:15], v[76:77], -v[82:83]
	v_fma_f64 v[76:77], v[130:131], s[2:3], v[100:101]
	v_fma_f64 v[82:83], v[128:129], s[6:7], v[96:97]
	v_fma_f64 v[56:57], v[162:163], -0.5, v[56:57]
	v_fma_f64 v[96:97], v[148:149], s[2:3], v[60:61]
	v_fma_f64 v[100:101], v[148:149], s[6:7], v[60:61]
	;; [unrolled: 1-line block ×12, first 2 shown]
	v_mul_f64 v[32:33], v[34:35], s[6:7]
	v_mul_f64 v[38:39], v[42:43], s[2:3]
	v_fma_f64 v[80:81], v[196:197], s[2:3], v[36:37]
	v_fma_f64 v[84:85], v[196:197], s[6:7], v[36:37]
	v_mul_f64 v[36:37], v[40:41], -0.5
	v_mul_f64 v[158:159], v[54:55], -0.5
	v_add_f64 v[16:17], v[86:87], v[90:91]
	v_add_f64 v[20:21], v[86:87], -v[90:91]
	v_mul_f64 v[86:87], v[46:47], s[6:7]
	v_mul_f64 v[90:91], v[62:63], s[2:3]
	v_add_f64 v[18:19], v[88:89], v[92:93]
	v_add_f64 v[22:23], v[88:89], -v[92:93]
	v_mul_f64 v[88:89], v[50:51], -0.5
	v_mul_f64 v[92:93], v[68:69], -0.5
	v_fma_f64 v[160:161], v[146:147], s[6:7], v[64:65]
	v_fma_f64 v[146:147], v[146:147], s[2:3], v[64:65]
	v_mul_f64 v[64:65], v[70:71], s[6:7]
	v_mul_f64 v[164:165], v[48:49], s[2:3]
	v_fma_f64 v[162:163], v[144:145], s[2:3], v[66:67]
	v_fma_f64 v[144:145], v[144:145], s[6:7], v[66:67]
	v_mul_f64 v[66:67], v[142:143], -0.5
	v_mul_f64 v[168:169], v[44:45], -0.5
	v_fma_f64 v[118:119], v[236:237], -0.5, v[124:125]
	v_add_f64 v[120:121], v[238:239], v[28:29]
	v_fma_f64 v[124:125], v[240:241], -0.5, v[126:127]
	v_add_f64 v[126:127], v[242:243], v[30:31]
	v_add_f64 v[24:25], v[94:95], v[52:53]
	;; [unrolled: 1-line block ×3, first 2 shown]
	v_add_f64 v[28:29], v[94:95], -v[52:53]
	v_add_f64 v[30:31], v[98:99], -v[102:103]
	v_mul_f64 v[52:53], v[74:75], s[6:7]
	v_mul_f64 v[98:99], v[78:79], s[2:3]
	v_mul_f64 v[94:95], v[76:77], -0.5
	v_mul_f64 v[102:103], v[82:83], -0.5
	v_fma_f64 v[58:59], v[173:174], -0.5, v[58:59]
	v_fma_f64 v[170:171], v[246:247], s[6:7], v[56:57]
	v_fma_f64 v[173:174], v[246:247], s[2:3], v[56:57]
	v_mul_f64 v[56:57], v[60:61], s[6:7]
	v_mul_f64 v[175:176], v[128:129], -0.5
	v_mul_f64 v[178:179], v[130:131], s[2:3]
	v_mul_f64 v[186:187], v[148:149], -0.5
	v_mul_f64 v[188:189], v[150:151], s[6:7]
	v_mul_f64 v[192:193], v[154:155], s[2:3]
	v_mul_f64 v[190:191], v[152:153], -0.5
	v_mul_f64 v[194:195], v[156:157], -0.5
	v_fma_f64 v[196:197], v[42:43], 0.5, v[32:33]
	v_fma_f64 v[200:201], v[34:35], 0.5, v[38:39]
	v_fma_f64 v[198:199], v[54:55], s[6:7], v[36:37]
	v_fma_f64 v[158:159], v[40:41], s[2:3], v[158:159]
	v_fma_f64 v[86:87], v[62:63], 0.5, v[86:87]
	v_fma_f64 v[90:91], v[46:47], 0.5, v[90:91]
	v_fma_f64 v[88:89], v[68:69], s[6:7], v[88:89]
	v_fma_f64 v[92:93], v[50:51], s[2:3], v[92:93]
	v_add_f64 v[32:33], v[106:107], v[112:113]
	v_add_f64 v[36:37], v[106:107], -v[112:113]
	v_fma_f64 v[106:107], v[48:49], 0.5, v[64:65]
	v_fma_f64 v[112:113], v[70:71], 0.5, v[164:165]
	v_add_f64 v[34:35], v[108:109], v[114:115]
	v_add_f64 v[38:39], v[108:109], -v[114:115]
	v_fma_f64 v[108:109], v[44:45], s[6:7], v[66:67]
	v_fma_f64 v[114:115], v[142:143], s[2:3], v[168:169]
	;; [unrolled: 1-line block ×6, first 2 shown]
	v_add_f64 v[40:41], v[116:117], v[126:127]
	v_add_f64 v[42:43], v[120:121], v[132:133]
	v_add_f64 v[44:45], v[116:117], -v[126:127]
	v_fma_f64 v[118:119], v[78:79], 0.5, v[52:53]
	v_fma_f64 v[168:169], v[74:75], 0.5, v[98:99]
	v_fma_f64 v[124:125], v[82:83], s[6:7], v[94:95]
	v_fma_f64 v[208:209], v[76:77], s[2:3], v[102:103]
	;; [unrolled: 1-line block ×3, first 2 shown]
	v_add_f64 v[46:47], v[120:121], -v[132:133]
	v_fma_f64 v[204:205], v[244:245], s[6:7], v[58:59]
	v_fma_f64 v[120:121], v[130:131], 0.5, v[56:57]
	v_fma_f64 v[126:127], v[148:149], s[6:7], v[175:176]
	v_fma_f64 v[148:149], v[60:61], 0.5, v[178:179]
	;; [unrolled: 2-line block ×3, first 2 shown]
	v_fma_f64 v[150:151], v[150:151], 0.5, v[192:193]
	v_fma_f64 v[156:157], v[156:157], s[6:7], v[190:191]
	v_fma_f64 v[152:153], v[152:153], s[2:3], v[194:195]
	v_add_f64 v[48:49], v[134:135], v[196:197]
	v_add_f64 v[50:51], v[138:139], v[200:201]
	v_add_f64 v[52:53], v[136:137], v[198:199]
	v_add_f64 v[54:55], v[122:123], v[158:159]
	v_add_f64 v[56:57], v[134:135], -v[196:197]
	v_add_f64 v[58:59], v[138:139], -v[200:201]
	v_add_f64 v[60:61], v[136:137], -v[198:199]
	v_add_f64 v[62:63], v[122:123], -v[158:159]
	v_add_f64 v[64:65], v[72:73], v[86:87]
	v_add_f64 v[66:67], v[80:81], v[90:91]
	v_add_f64 v[68:69], v[140:141], v[88:89]
	v_add_f64 v[70:71], v[84:85], v[92:93]
	v_add_f64 v[72:73], v[72:73], -v[86:87]
	v_add_f64 v[74:75], v[80:81], -v[90:91]
	v_add_f64 v[76:77], v[140:141], -v[88:89]
	v_add_f64 v[78:79], v[84:85], -v[92:93]
	;; [unrolled: 8-line block ×4, first 2 shown]
	v_add_f64 v[112:113], v[170:171], v[120:121]
	v_add_f64 v[114:115], v[202:203], v[148:149]
	;; [unrolled: 1-line block ×8, first 2 shown]
	v_add_f64 v[120:121], v[170:171], -v[120:121]
	v_add_f64 v[122:123], v[202:203], -v[148:149]
	;; [unrolled: 1-line block ×8, first 2 shown]
	s_barrier
	buffer_gl0_inv
	ds_store_b128 v232, v[0:3]
	ds_store_b128 v232, v[48:51] offset:5760
	ds_store_b128 v232, v[4:7] offset:17280
	ds_store_b128 v232, v[52:55] offset:11520
	ds_store_b128 v232, v[56:59] offset:23040
	ds_store_b128 v232, v[60:63] offset:28800
	ds_store_b128 v233, v[8:11]
	ds_store_b128 v233, v[64:67] offset:5760
	ds_store_b128 v233, v[68:71] offset:11520
	ds_store_b128 v233, v[12:15] offset:17280
	ds_store_b128 v233, v[72:75] offset:23040
	ds_store_b128 v233, v[76:79] offset:28800
	;; [unrolled: 6-line block ×4, first 2 shown]
	ds_store_b128 v232, v[112:115] offset:9600
	ds_store_b128 v232, v[40:43] offset:4800
	;; [unrolled: 1-line block ×12, first 2 shown]
	s_waitcnt lgkmcnt(0)
	s_barrier
	buffer_gl0_inv
	ds_load_b128 v[4:7], v232
	v_lshlrev_b32_e32 v0, 4, v172
	s_addc_u32 s2, s5, 0
	s_mov_b32 s3, exec_lo
                                        ; implicit-def: $vgpr2_vgpr3
                                        ; implicit-def: $vgpr10_vgpr11
                                        ; implicit-def: $vgpr8_vgpr9
	s_delay_alu instid0(VALU_DEP_1)
	v_sub_nc_u32_e32 v12, 0, v0
	v_cmpx_ne_u32_e32 0, v172
	s_xor_b32 s3, exec_lo, s3
	s_cbranch_execz .LBB0_17
; %bb.16:
	v_mov_b32_e32 v173, v185
	s_delay_alu instid0(VALU_DEP_1) | instskip(NEXT) | instid1(VALU_DEP_1)
	v_lshlrev_b64 v[0:1], 4, v[172:173]
	v_add_co_u32 v0, s0, s1, v0
	s_delay_alu instid0(VALU_DEP_1)
	v_add_co_ci_u32_e64 v1, s0, s2, v1, s0
	global_load_b128 v[8:11], v[0:1], off
	ds_load_b128 v[0:3], v12 offset:34560
	s_waitcnt lgkmcnt(0)
	v_add_f64 v[13:14], v[4:5], -v[0:1]
	v_add_f64 v[15:16], v[6:7], v[2:3]
	v_add_f64 v[2:3], v[6:7], -v[2:3]
	v_add_f64 v[0:1], v[4:5], v[0:1]
	s_delay_alu instid0(VALU_DEP_4) | instskip(NEXT) | instid1(VALU_DEP_4)
	v_mul_f64 v[6:7], v[13:14], 0.5
	v_mul_f64 v[4:5], v[15:16], 0.5
	s_delay_alu instid0(VALU_DEP_4) | instskip(SKIP_1) | instid1(VALU_DEP_3)
	v_mul_f64 v[2:3], v[2:3], 0.5
	s_waitcnt vmcnt(0)
	v_mul_f64 v[13:14], v[6:7], v[10:11]
	s_delay_alu instid0(VALU_DEP_2) | instskip(SKIP_1) | instid1(VALU_DEP_3)
	v_fma_f64 v[15:16], v[4:5], v[10:11], v[2:3]
	v_fma_f64 v[2:3], v[4:5], v[10:11], -v[2:3]
	v_fma_f64 v[17:18], v[0:1], 0.5, v[13:14]
	v_fma_f64 v[0:1], v[0:1], 0.5, -v[13:14]
	s_delay_alu instid0(VALU_DEP_4) | instskip(NEXT) | instid1(VALU_DEP_4)
	v_fma_f64 v[10:11], -v[8:9], v[6:7], v[15:16]
	v_fma_f64 v[2:3], -v[8:9], v[6:7], v[2:3]
	s_delay_alu instid0(VALU_DEP_4) | instskip(NEXT) | instid1(VALU_DEP_4)
	v_fma_f64 v[13:14], v[4:5], v[8:9], v[17:18]
	v_fma_f64 v[0:1], -v[4:5], v[8:9], v[0:1]
	v_dual_mov_b32 v8, v172 :: v_dual_mov_b32 v9, v173
                                        ; implicit-def: $vgpr4_vgpr5
	ds_store_b64 v232, v[13:14]
.LBB0_17:
	s_and_not1_saveexec_b32 s0, s3
	s_cbranch_execz .LBB0_19
; %bb.18:
	s_waitcnt lgkmcnt(0)
	v_add_f64 v[13:14], v[4:5], v[6:7]
	v_add_f64 v[0:1], v[4:5], -v[6:7]
	v_mov_b32_e32 v6, 0
	v_mov_b32_e32 v10, 0
	v_dual_mov_b32 v11, 0 :: v_dual_mov_b32 v8, 0
	s_delay_alu instid0(VALU_DEP_2)
	v_mov_b32_e32 v2, v10
	ds_load_b64 v[4:5], v6 offset:17288
	v_mov_b32_e32 v9, 0
	v_mov_b32_e32 v3, v11
	s_waitcnt lgkmcnt(0)
	v_xor_b32_e32 v5, 0x80000000, v5
	ds_store_b64 v232, v[13:14]
	ds_store_b64 v6, v[4:5] offset:17288
.LBB0_19:
	s_or_b32 exec_lo, exec_lo, s0
	scratch_load_b64 v[59:60], off, off offset:8 ; 8-byte Folded Reload
	s_waitcnt vmcnt(0)
	v_mov_b32_e32 v60, 0
	s_delay_alu instid0(VALU_DEP_1) | instskip(NEXT) | instid1(VALU_DEP_1)
	v_mov_b32_e32 v184, v60
	v_lshlrev_b64 v[13:14], 4, v[183:184]
	s_waitcnt lgkmcnt(0)
	v_lshlrev_b64 v[4:5], 4, v[59:60]
	s_delay_alu instid0(VALU_DEP_1) | instskip(NEXT) | instid1(VALU_DEP_1)
	v_add_co_u32 v4, s0, s1, v4
	v_add_co_ci_u32_e64 v5, s0, s2, v5, s0
	s_delay_alu instid0(VALU_DEP_4) | instskip(NEXT) | instid1(VALU_DEP_1)
	v_add_co_u32 v13, s0, s1, v13
	v_add_co_ci_u32_e64 v14, s0, s2, v14, s0
	s_clause 0x1
	global_load_b128 v[4:7], v[4:5], off
	global_load_b128 v[13:16], v[13:14], off
	ds_store_b64 v232, v[10:11] offset:8
	ds_store_b128 v12, v[0:3] offset:34560
	ds_load_b128 v[0:3], v233
	ds_load_b128 v[17:20], v12 offset:33600
	s_waitcnt lgkmcnt(0)
	v_add_f64 v[10:11], v[0:1], -v[17:18]
	v_add_f64 v[21:22], v[2:3], v[19:20]
	v_add_f64 v[2:3], v[2:3], -v[19:20]
	v_add_f64 v[0:1], v[0:1], v[17:18]
	s_delay_alu instid0(VALU_DEP_4) | instskip(NEXT) | instid1(VALU_DEP_4)
	v_mul_f64 v[10:11], v[10:11], 0.5
	v_mul_f64 v[19:20], v[21:22], 0.5
	s_delay_alu instid0(VALU_DEP_4) | instskip(SKIP_1) | instid1(VALU_DEP_3)
	v_mul_f64 v[2:3], v[2:3], 0.5
	s_waitcnt vmcnt(1)
	v_mul_f64 v[17:18], v[10:11], v[6:7]
	s_delay_alu instid0(VALU_DEP_2) | instskip(SKIP_1) | instid1(VALU_DEP_3)
	v_fma_f64 v[21:22], v[19:20], v[6:7], v[2:3]
	v_fma_f64 v[6:7], v[19:20], v[6:7], -v[2:3]
	v_fma_f64 v[23:24], v[0:1], 0.5, v[17:18]
	s_delay_alu instid0(VALU_DEP_3) | instskip(NEXT) | instid1(VALU_DEP_3)
	v_fma_f64 v[2:3], -v[4:5], v[10:11], v[21:22]
	v_fma_f64 v[6:7], -v[4:5], v[10:11], v[6:7]
	scratch_load_b64 v[10:11], off, off     ; 8-byte Folded Reload
	v_fma_f64 v[17:18], v[0:1], 0.5, -v[17:18]
	s_waitcnt vmcnt(0)
	v_mov_b32_e32 v11, v60
	v_fma_f64 v[0:1], v[19:20], v[4:5], v[23:24]
	s_delay_alu instid0(VALU_DEP_3) | instskip(NEXT) | instid1(VALU_DEP_3)
	v_fma_f64 v[4:5], -v[19:20], v[4:5], v[17:18]
	v_lshlrev_b64 v[10:11], 4, v[10:11]
	s_delay_alu instid0(VALU_DEP_1) | instskip(NEXT) | instid1(VALU_DEP_1)
	v_add_co_u32 v10, s0, s1, v10
	v_add_co_ci_u32_e64 v11, s0, s2, v11, s0
	global_load_b128 v[17:20], v[10:11], off
	ds_store_b128 v233, v[0:3]
	ds_store_b128 v12, v[4:7] offset:33600
	ds_load_b128 v[0:3], v181
	ds_load_b128 v[4:7], v12 offset:32640
	s_waitcnt lgkmcnt(0)
	v_add_f64 v[10:11], v[0:1], -v[4:5]
	v_add_f64 v[21:22], v[2:3], v[6:7]
	v_add_f64 v[2:3], v[2:3], -v[6:7]
	v_add_f64 v[0:1], v[0:1], v[4:5]
	s_delay_alu instid0(VALU_DEP_4) | instskip(NEXT) | instid1(VALU_DEP_4)
	v_mul_f64 v[10:11], v[10:11], 0.5
	v_mul_f64 v[21:22], v[21:22], 0.5
	s_delay_alu instid0(VALU_DEP_4) | instskip(NEXT) | instid1(VALU_DEP_3)
	v_mul_f64 v[2:3], v[2:3], 0.5
	v_mul_f64 v[4:5], v[10:11], v[15:16]
	s_delay_alu instid0(VALU_DEP_2) | instskip(SKIP_1) | instid1(VALU_DEP_3)
	v_fma_f64 v[6:7], v[21:22], v[15:16], v[2:3]
	v_fma_f64 v[2:3], v[21:22], v[15:16], -v[2:3]
	v_fma_f64 v[23:24], v[0:1], 0.5, v[4:5]
	v_fma_f64 v[0:1], v[0:1], 0.5, -v[4:5]
	s_delay_alu instid0(VALU_DEP_4) | instskip(NEXT) | instid1(VALU_DEP_4)
	v_fma_f64 v[6:7], -v[13:14], v[10:11], v[6:7]
	v_fma_f64 v[15:16], -v[13:14], v[10:11], v[2:3]
	s_delay_alu instid0(VALU_DEP_4) | instskip(NEXT) | instid1(VALU_DEP_4)
	v_fma_f64 v[4:5], v[21:22], v[13:14], v[23:24]
	v_fma_f64 v[13:14], -v[21:22], v[13:14], v[0:1]
	v_lshlrev_b64 v[0:1], 4, v[8:9]
	s_delay_alu instid0(VALU_DEP_1) | instskip(NEXT) | instid1(VALU_DEP_1)
	v_add_co_u32 v2, s0, s1, v0
	v_add_co_ci_u32_e64 v3, s0, s2, v1, s0
	global_load_b128 v[8:11], v[2:3], off offset:3840
	ds_store_b128 v181, v[4:7]
	ds_store_b128 v12, v[13:16] offset:32640
	ds_load_b128 v[4:7], v177
	ds_load_b128 v[13:16], v12 offset:31680
	s_waitcnt lgkmcnt(0)
	v_add_f64 v[21:22], v[4:5], -v[13:14]
	v_add_f64 v[23:24], v[6:7], v[15:16]
	v_add_f64 v[6:7], v[6:7], -v[15:16]
	v_add_f64 v[4:5], v[4:5], v[13:14]
	s_delay_alu instid0(VALU_DEP_4) | instskip(NEXT) | instid1(VALU_DEP_4)
	v_mul_f64 v[15:16], v[21:22], 0.5
	v_mul_f64 v[21:22], v[23:24], 0.5
	s_delay_alu instid0(VALU_DEP_4) | instskip(SKIP_1) | instid1(VALU_DEP_3)
	v_mul_f64 v[6:7], v[6:7], 0.5
	s_waitcnt vmcnt(1)
	v_mul_f64 v[13:14], v[15:16], v[19:20]
	s_delay_alu instid0(VALU_DEP_2) | instskip(SKIP_1) | instid1(VALU_DEP_3)
	v_fma_f64 v[23:24], v[21:22], v[19:20], v[6:7]
	v_fma_f64 v[19:20], v[21:22], v[19:20], -v[6:7]
	v_fma_f64 v[25:26], v[4:5], 0.5, v[13:14]
	v_fma_f64 v[13:14], v[4:5], 0.5, -v[13:14]
	s_delay_alu instid0(VALU_DEP_4) | instskip(NEXT) | instid1(VALU_DEP_4)
	v_fma_f64 v[6:7], -v[17:18], v[15:16], v[23:24]
	v_fma_f64 v[15:16], -v[17:18], v[15:16], v[19:20]
	s_delay_alu instid0(VALU_DEP_4) | instskip(NEXT) | instid1(VALU_DEP_4)
	v_fma_f64 v[4:5], v[21:22], v[17:18], v[25:26]
	v_fma_f64 v[13:14], -v[21:22], v[17:18], v[13:14]
	v_add_co_u32 v21, s0, 0x1000, v2
	s_delay_alu instid0(VALU_DEP_1)
	v_add_co_ci_u32_e64 v22, s0, 0, v3, s0
	global_load_b128 v[17:20], v[21:22], off offset:704
	ds_store_b128 v177, v[4:7]
	ds_store_b128 v12, v[13:16] offset:31680
	ds_load_b128 v[4:7], v232 offset:3840
	ds_load_b128 v[13:16], v12 offset:30720
	s_waitcnt lgkmcnt(0)
	v_add_f64 v[23:24], v[4:5], -v[13:14]
	v_add_f64 v[25:26], v[6:7], v[15:16]
	v_add_f64 v[6:7], v[6:7], -v[15:16]
	v_add_f64 v[4:5], v[4:5], v[13:14]
	s_delay_alu instid0(VALU_DEP_4) | instskip(NEXT) | instid1(VALU_DEP_4)
	v_mul_f64 v[15:16], v[23:24], 0.5
	v_mul_f64 v[23:24], v[25:26], 0.5
	s_delay_alu instid0(VALU_DEP_4) | instskip(SKIP_1) | instid1(VALU_DEP_3)
	v_mul_f64 v[6:7], v[6:7], 0.5
	s_waitcnt vmcnt(1)
	v_mul_f64 v[13:14], v[15:16], v[10:11]
	s_delay_alu instid0(VALU_DEP_2) | instskip(SKIP_1) | instid1(VALU_DEP_3)
	v_fma_f64 v[25:26], v[23:24], v[10:11], v[6:7]
	v_fma_f64 v[10:11], v[23:24], v[10:11], -v[6:7]
	v_fma_f64 v[27:28], v[4:5], 0.5, v[13:14]
	v_fma_f64 v[13:14], v[4:5], 0.5, -v[13:14]
	s_delay_alu instid0(VALU_DEP_4) | instskip(NEXT) | instid1(VALU_DEP_4)
	v_fma_f64 v[6:7], -v[8:9], v[15:16], v[25:26]
	v_fma_f64 v[10:11], -v[8:9], v[15:16], v[10:11]
	s_delay_alu instid0(VALU_DEP_4) | instskip(NEXT) | instid1(VALU_DEP_4)
	v_fma_f64 v[4:5], v[23:24], v[8:9], v[27:28]
	v_fma_f64 v[8:9], -v[23:24], v[8:9], v[13:14]
	global_load_b128 v[13:16], v[21:22], off offset:1664
	ds_store_b128 v232, v[4:7] offset:3840
	ds_store_b128 v12, v[8:11] offset:30720
	ds_load_b128 v[4:7], v232 offset:4800
	ds_load_b128 v[8:11], v12 offset:29760
	s_waitcnt lgkmcnt(0)
	v_add_f64 v[23:24], v[4:5], -v[8:9]
	v_add_f64 v[25:26], v[6:7], v[10:11]
	v_add_f64 v[6:7], v[6:7], -v[10:11]
	v_add_f64 v[4:5], v[4:5], v[8:9]
	s_delay_alu instid0(VALU_DEP_4) | instskip(NEXT) | instid1(VALU_DEP_4)
	v_mul_f64 v[10:11], v[23:24], 0.5
	v_mul_f64 v[23:24], v[25:26], 0.5
	s_delay_alu instid0(VALU_DEP_4) | instskip(SKIP_1) | instid1(VALU_DEP_3)
	v_mul_f64 v[6:7], v[6:7], 0.5
	s_waitcnt vmcnt(1)
	v_mul_f64 v[8:9], v[10:11], v[19:20]
	s_delay_alu instid0(VALU_DEP_2) | instskip(SKIP_1) | instid1(VALU_DEP_3)
	v_fma_f64 v[25:26], v[23:24], v[19:20], v[6:7]
	v_fma_f64 v[19:20], v[23:24], v[19:20], -v[6:7]
	v_fma_f64 v[27:28], v[4:5], 0.5, v[8:9]
	v_fma_f64 v[8:9], v[4:5], 0.5, -v[8:9]
	s_delay_alu instid0(VALU_DEP_4) | instskip(NEXT) | instid1(VALU_DEP_4)
	v_fma_f64 v[6:7], -v[17:18], v[10:11], v[25:26]
	v_fma_f64 v[10:11], -v[17:18], v[10:11], v[19:20]
	s_delay_alu instid0(VALU_DEP_4) | instskip(NEXT) | instid1(VALU_DEP_4)
	v_fma_f64 v[4:5], v[23:24], v[17:18], v[27:28]
	v_fma_f64 v[8:9], -v[23:24], v[17:18], v[8:9]
	global_load_b128 v[17:20], v[21:22], off offset:2624
	ds_store_b128 v232, v[4:7] offset:4800
	;; [unrolled: 28-line block ×3, first 2 shown]
	ds_store_b128 v12, v[8:11] offset:28800
	ds_load_b128 v[4:7], v232 offset:6720
	ds_load_b128 v[8:11], v12 offset:27840
	s_waitcnt lgkmcnt(0)
	v_add_f64 v[21:22], v[4:5], -v[8:9]
	v_add_f64 v[23:24], v[6:7], v[10:11]
	v_add_f64 v[6:7], v[6:7], -v[10:11]
	v_add_f64 v[4:5], v[4:5], v[8:9]
	s_delay_alu instid0(VALU_DEP_4) | instskip(NEXT) | instid1(VALU_DEP_4)
	v_mul_f64 v[10:11], v[21:22], 0.5
	v_mul_f64 v[21:22], v[23:24], 0.5
	s_delay_alu instid0(VALU_DEP_4) | instskip(SKIP_1) | instid1(VALU_DEP_3)
	v_mul_f64 v[6:7], v[6:7], 0.5
	s_waitcnt vmcnt(1)
	v_mul_f64 v[8:9], v[10:11], v[19:20]
	s_delay_alu instid0(VALU_DEP_2) | instskip(SKIP_1) | instid1(VALU_DEP_3)
	v_fma_f64 v[23:24], v[21:22], v[19:20], v[6:7]
	v_fma_f64 v[19:20], v[21:22], v[19:20], -v[6:7]
	v_fma_f64 v[25:26], v[4:5], 0.5, v[8:9]
	v_fma_f64 v[8:9], v[4:5], 0.5, -v[8:9]
	s_delay_alu instid0(VALU_DEP_4) | instskip(NEXT) | instid1(VALU_DEP_4)
	v_fma_f64 v[6:7], -v[17:18], v[10:11], v[23:24]
	v_fma_f64 v[10:11], -v[17:18], v[10:11], v[19:20]
	s_delay_alu instid0(VALU_DEP_4) | instskip(NEXT) | instid1(VALU_DEP_4)
	v_fma_f64 v[4:5], v[21:22], v[17:18], v[25:26]
	v_fma_f64 v[8:9], -v[21:22], v[17:18], v[8:9]
	v_add_co_u32 v21, s0, 0x2000, v2
	s_delay_alu instid0(VALU_DEP_1)
	v_add_co_ci_u32_e64 v22, s0, 0, v3, s0
	global_load_b128 v[17:20], v[21:22], off offset:448
	ds_store_b128 v232, v[4:7] offset:6720
	ds_store_b128 v12, v[8:11] offset:27840
	ds_load_b128 v[4:7], v232 offset:7680
	ds_load_b128 v[8:11], v12 offset:26880
	s_waitcnt lgkmcnt(0)
	v_add_f64 v[23:24], v[4:5], -v[8:9]
	v_add_f64 v[25:26], v[6:7], v[10:11]
	v_add_f64 v[6:7], v[6:7], -v[10:11]
	v_add_f64 v[4:5], v[4:5], v[8:9]
	s_delay_alu instid0(VALU_DEP_4) | instskip(NEXT) | instid1(VALU_DEP_4)
	v_mul_f64 v[10:11], v[23:24], 0.5
	v_mul_f64 v[23:24], v[25:26], 0.5
	s_delay_alu instid0(VALU_DEP_4) | instskip(SKIP_1) | instid1(VALU_DEP_3)
	v_mul_f64 v[6:7], v[6:7], 0.5
	s_waitcnt vmcnt(1)
	v_mul_f64 v[8:9], v[10:11], v[15:16]
	s_delay_alu instid0(VALU_DEP_2) | instskip(SKIP_1) | instid1(VALU_DEP_3)
	v_fma_f64 v[25:26], v[23:24], v[15:16], v[6:7]
	v_fma_f64 v[15:16], v[23:24], v[15:16], -v[6:7]
	v_fma_f64 v[27:28], v[4:5], 0.5, v[8:9]
	v_fma_f64 v[8:9], v[4:5], 0.5, -v[8:9]
	s_delay_alu instid0(VALU_DEP_4) | instskip(NEXT) | instid1(VALU_DEP_4)
	v_fma_f64 v[6:7], -v[13:14], v[10:11], v[25:26]
	v_fma_f64 v[10:11], -v[13:14], v[10:11], v[15:16]
	s_delay_alu instid0(VALU_DEP_4) | instskip(NEXT) | instid1(VALU_DEP_4)
	v_fma_f64 v[4:5], v[23:24], v[13:14], v[27:28]
	v_fma_f64 v[8:9], -v[23:24], v[13:14], v[8:9]
	global_load_b128 v[13:16], v[21:22], off offset:1408
	ds_store_b128 v232, v[4:7] offset:7680
	ds_store_b128 v12, v[8:11] offset:26880
	ds_load_b128 v[4:7], v232 offset:8640
	ds_load_b128 v[8:11], v12 offset:25920
	s_waitcnt lgkmcnt(0)
	v_add_f64 v[23:24], v[4:5], -v[8:9]
	v_add_f64 v[25:26], v[6:7], v[10:11]
	v_add_f64 v[6:7], v[6:7], -v[10:11]
	v_add_f64 v[4:5], v[4:5], v[8:9]
	s_delay_alu instid0(VALU_DEP_4) | instskip(NEXT) | instid1(VALU_DEP_4)
	v_mul_f64 v[10:11], v[23:24], 0.5
	v_mul_f64 v[23:24], v[25:26], 0.5
	s_delay_alu instid0(VALU_DEP_4) | instskip(SKIP_1) | instid1(VALU_DEP_3)
	v_mul_f64 v[6:7], v[6:7], 0.5
	s_waitcnt vmcnt(1)
	v_mul_f64 v[8:9], v[10:11], v[19:20]
	s_delay_alu instid0(VALU_DEP_2) | instskip(SKIP_1) | instid1(VALU_DEP_3)
	v_fma_f64 v[25:26], v[23:24], v[19:20], v[6:7]
	v_fma_f64 v[19:20], v[23:24], v[19:20], -v[6:7]
	v_fma_f64 v[27:28], v[4:5], 0.5, v[8:9]
	v_fma_f64 v[8:9], v[4:5], 0.5, -v[8:9]
	s_delay_alu instid0(VALU_DEP_4) | instskip(NEXT) | instid1(VALU_DEP_4)
	v_fma_f64 v[6:7], -v[17:18], v[10:11], v[25:26]
	v_fma_f64 v[10:11], -v[17:18], v[10:11], v[19:20]
	s_delay_alu instid0(VALU_DEP_4) | instskip(NEXT) | instid1(VALU_DEP_4)
	v_fma_f64 v[4:5], v[23:24], v[17:18], v[27:28]
	v_fma_f64 v[8:9], -v[23:24], v[17:18], v[8:9]
	;; [unrolled: 28-line block ×4, first 2 shown]
	v_add_co_u32 v21, s0, 0x3000, v2
	s_delay_alu instid0(VALU_DEP_1)
	v_add_co_ci_u32_e64 v22, s0, 0, v3, s0
	global_load_b128 v[17:20], v[21:22], off offset:192
	ds_store_b128 v232, v[4:7] offset:10560
	ds_store_b128 v12, v[8:11] offset:24000
	ds_load_b128 v[2:5], v232 offset:11520
	ds_load_b128 v[6:9], v12 offset:23040
	s_waitcnt lgkmcnt(0)
	v_add_f64 v[10:11], v[2:3], -v[6:7]
	v_add_f64 v[23:24], v[4:5], v[8:9]
	v_add_f64 v[4:5], v[4:5], -v[8:9]
	v_add_f64 v[2:3], v[2:3], v[6:7]
	s_delay_alu instid0(VALU_DEP_4) | instskip(NEXT) | instid1(VALU_DEP_4)
	v_mul_f64 v[8:9], v[10:11], 0.5
	v_mul_f64 v[10:11], v[23:24], 0.5
	s_delay_alu instid0(VALU_DEP_4) | instskip(SKIP_1) | instid1(VALU_DEP_3)
	v_mul_f64 v[4:5], v[4:5], 0.5
	s_waitcnt vmcnt(1)
	v_mul_f64 v[6:7], v[8:9], v[15:16]
	s_delay_alu instid0(VALU_DEP_2) | instskip(SKIP_1) | instid1(VALU_DEP_3)
	v_fma_f64 v[23:24], v[10:11], v[15:16], v[4:5]
	v_fma_f64 v[15:16], v[10:11], v[15:16], -v[4:5]
	v_fma_f64 v[25:26], v[2:3], 0.5, v[6:7]
	v_fma_f64 v[6:7], v[2:3], 0.5, -v[6:7]
	s_delay_alu instid0(VALU_DEP_4) | instskip(NEXT) | instid1(VALU_DEP_4)
	v_fma_f64 v[4:5], -v[13:14], v[8:9], v[23:24]
	v_fma_f64 v[8:9], -v[13:14], v[8:9], v[15:16]
	s_delay_alu instid0(VALU_DEP_4) | instskip(NEXT) | instid1(VALU_DEP_4)
	v_fma_f64 v[2:3], v[10:11], v[13:14], v[25:26]
	v_fma_f64 v[6:7], -v[10:11], v[13:14], v[6:7]
	global_load_b128 v[13:16], v[21:22], off offset:1152
	ds_store_b128 v232, v[2:5] offset:11520
	ds_store_b128 v12, v[6:9] offset:23040
	ds_load_b128 v[2:5], v232 offset:12480
	ds_load_b128 v[6:9], v12 offset:22080
	s_waitcnt lgkmcnt(0)
	v_add_f64 v[10:11], v[2:3], -v[6:7]
	v_add_f64 v[23:24], v[4:5], v[8:9]
	v_add_f64 v[4:5], v[4:5], -v[8:9]
	v_add_f64 v[2:3], v[2:3], v[6:7]
	s_delay_alu instid0(VALU_DEP_4) | instskip(NEXT) | instid1(VALU_DEP_4)
	v_mul_f64 v[8:9], v[10:11], 0.5
	v_mul_f64 v[10:11], v[23:24], 0.5
	s_delay_alu instid0(VALU_DEP_4) | instskip(SKIP_1) | instid1(VALU_DEP_3)
	v_mul_f64 v[4:5], v[4:5], 0.5
	s_waitcnt vmcnt(1)
	v_mul_f64 v[6:7], v[8:9], v[19:20]
	s_delay_alu instid0(VALU_DEP_2) | instskip(SKIP_1) | instid1(VALU_DEP_3)
	v_fma_f64 v[23:24], v[10:11], v[19:20], v[4:5]
	v_fma_f64 v[19:20], v[10:11], v[19:20], -v[4:5]
	v_fma_f64 v[25:26], v[2:3], 0.5, v[6:7]
	v_fma_f64 v[6:7], v[2:3], 0.5, -v[6:7]
	s_delay_alu instid0(VALU_DEP_4) | instskip(NEXT) | instid1(VALU_DEP_4)
	v_fma_f64 v[4:5], -v[17:18], v[8:9], v[23:24]
	v_fma_f64 v[8:9], -v[17:18], v[8:9], v[19:20]
	s_delay_alu instid0(VALU_DEP_4) | instskip(NEXT) | instid1(VALU_DEP_4)
	v_fma_f64 v[2:3], v[10:11], v[17:18], v[25:26]
	v_fma_f64 v[6:7], -v[10:11], v[17:18], v[6:7]
	;; [unrolled: 28-line block ×3, first 2 shown]
	scratch_load_b64 v[2:3], off, off offset:16 ; 8-byte Folded Reload
	s_waitcnt vmcnt(0)
	v_mov_b32_e32 v3, v60
	s_delay_alu instid0(VALU_DEP_1) | instskip(NEXT) | instid1(VALU_DEP_1)
	v_lshlrev_b64 v[2:3], 4, v[2:3]
	v_add_co_u32 v13, s0, s1, v2
	s_delay_alu instid0(VALU_DEP_1)
	v_add_co_ci_u32_e64 v14, s0, s2, v3, s0
	global_load_b128 v[13:16], v[13:14], off
	ds_store_b128 v232, v[4:7] offset:13440
	ds_store_b128 v12, v[8:11] offset:21120
	ds_load_b128 v[4:7], v232 offset:14400
	ds_load_b128 v[8:11], v12 offset:20160
	s_waitcnt lgkmcnt(0)
	v_add_f64 v[23:24], v[4:5], -v[8:9]
	v_add_f64 v[25:26], v[6:7], v[10:11]
	v_add_f64 v[6:7], v[6:7], -v[10:11]
	v_add_f64 v[4:5], v[4:5], v[8:9]
	s_delay_alu instid0(VALU_DEP_4) | instskip(NEXT) | instid1(VALU_DEP_4)
	v_mul_f64 v[10:11], v[23:24], 0.5
	v_mul_f64 v[25:26], v[25:26], 0.5
	s_delay_alu instid0(VALU_DEP_4) | instskip(SKIP_4) | instid1(VALU_DEP_3)
	v_mul_f64 v[6:7], v[6:7], 0.5
	global_load_b128 v[21:24], v[21:22], off offset:4032
	v_mul_f64 v[8:9], v[10:11], v[19:20]
	v_fma_f64 v[27:28], v[25:26], v[19:20], v[6:7]
	v_fma_f64 v[19:20], v[25:26], v[19:20], -v[6:7]
	v_fma_f64 v[29:30], v[4:5], 0.5, v[8:9]
	v_fma_f64 v[8:9], v[4:5], 0.5, -v[8:9]
	s_delay_alu instid0(VALU_DEP_4) | instskip(NEXT) | instid1(VALU_DEP_4)
	v_fma_f64 v[6:7], -v[17:18], v[10:11], v[27:28]
	v_fma_f64 v[10:11], -v[17:18], v[10:11], v[19:20]
	s_delay_alu instid0(VALU_DEP_4) | instskip(NEXT) | instid1(VALU_DEP_4)
	v_fma_f64 v[4:5], v[25:26], v[17:18], v[29:30]
	v_fma_f64 v[8:9], -v[25:26], v[17:18], v[8:9]
	ds_store_b128 v232, v[4:7] offset:14400
	ds_store_b128 v12, v[8:11] offset:20160
	ds_load_b128 v[4:7], v232 offset:15360
	ds_load_b128 v[8:11], v12 offset:19200
	s_waitcnt lgkmcnt(0)
	v_add_f64 v[17:18], v[4:5], -v[8:9]
	v_add_f64 v[19:20], v[6:7], v[10:11]
	v_add_f64 v[6:7], v[6:7], -v[10:11]
	v_add_f64 v[4:5], v[4:5], v[8:9]
	s_delay_alu instid0(VALU_DEP_4) | instskip(NEXT) | instid1(VALU_DEP_4)
	v_mul_f64 v[10:11], v[17:18], 0.5
	v_mul_f64 v[17:18], v[19:20], 0.5
	s_delay_alu instid0(VALU_DEP_4) | instskip(SKIP_1) | instid1(VALU_DEP_3)
	v_mul_f64 v[6:7], v[6:7], 0.5
	s_waitcnt vmcnt(1)
	v_mul_f64 v[8:9], v[10:11], v[15:16]
	s_delay_alu instid0(VALU_DEP_2) | instskip(SKIP_1) | instid1(VALU_DEP_3)
	v_fma_f64 v[19:20], v[17:18], v[15:16], v[6:7]
	v_fma_f64 v[15:16], v[17:18], v[15:16], -v[6:7]
	v_fma_f64 v[25:26], v[4:5], 0.5, v[8:9]
	v_fma_f64 v[8:9], v[4:5], 0.5, -v[8:9]
	s_delay_alu instid0(VALU_DEP_4) | instskip(NEXT) | instid1(VALU_DEP_4)
	v_fma_f64 v[6:7], -v[13:14], v[10:11], v[19:20]
	v_fma_f64 v[10:11], -v[13:14], v[10:11], v[15:16]
	s_delay_alu instid0(VALU_DEP_4) | instskip(NEXT) | instid1(VALU_DEP_4)
	v_fma_f64 v[4:5], v[17:18], v[13:14], v[25:26]
	v_fma_f64 v[8:9], -v[17:18], v[13:14], v[8:9]
	ds_store_b128 v232, v[4:7] offset:15360
	ds_store_b128 v12, v[8:11] offset:19200
	ds_load_b128 v[4:7], v232 offset:16320
	ds_load_b128 v[8:11], v12 offset:18240
	s_waitcnt lgkmcnt(0)
	v_add_f64 v[13:14], v[4:5], -v[8:9]
	v_add_f64 v[15:16], v[6:7], v[10:11]
	v_add_f64 v[6:7], v[6:7], -v[10:11]
	v_add_f64 v[4:5], v[4:5], v[8:9]
	s_delay_alu instid0(VALU_DEP_4) | instskip(NEXT) | instid1(VALU_DEP_4)
	v_mul_f64 v[10:11], v[13:14], 0.5
	v_mul_f64 v[13:14], v[15:16], 0.5
	s_delay_alu instid0(VALU_DEP_4) | instskip(SKIP_1) | instid1(VALU_DEP_3)
	v_mul_f64 v[6:7], v[6:7], 0.5
	s_waitcnt vmcnt(0)
	v_mul_f64 v[8:9], v[10:11], v[23:24]
	s_delay_alu instid0(VALU_DEP_2) | instskip(SKIP_1) | instid1(VALU_DEP_3)
	v_fma_f64 v[15:16], v[13:14], v[23:24], v[6:7]
	v_fma_f64 v[17:18], v[13:14], v[23:24], -v[6:7]
	v_fma_f64 v[19:20], v[4:5], 0.5, v[8:9]
	v_fma_f64 v[8:9], v[4:5], 0.5, -v[8:9]
	s_delay_alu instid0(VALU_DEP_4) | instskip(NEXT) | instid1(VALU_DEP_4)
	v_fma_f64 v[6:7], -v[21:22], v[10:11], v[15:16]
	v_fma_f64 v[10:11], -v[21:22], v[10:11], v[17:18]
	s_delay_alu instid0(VALU_DEP_4) | instskip(NEXT) | instid1(VALU_DEP_4)
	v_fma_f64 v[4:5], v[13:14], v[21:22], v[19:20]
	v_fma_f64 v[8:9], -v[13:14], v[21:22], v[8:9]
	ds_store_b128 v232, v[4:7] offset:16320
	ds_store_b128 v12, v[8:11] offset:18240
	s_waitcnt lgkmcnt(0)
	s_barrier
	buffer_gl0_inv
	s_and_saveexec_b32 s0, vcc_lo
	s_cbranch_execz .LBB0_22
; %bb.20:
	ds_load_b128 v[6:9], v232
	ds_load_b128 v[10:13], v232 offset:960
	ds_load_b128 v[14:17], v232 offset:1920
	;; [unrolled: 1-line block ×5, first 2 shown]
	scratch_load_b64 v[4:5], off, off offset:32 ; 8-byte Folded Reload
	ds_load_b128 v[30:33], v232 offset:5760
	ds_load_b128 v[34:37], v232 offset:6720
	;; [unrolled: 1-line block ×3, first 2 shown]
	s_waitcnt vmcnt(0)
	v_add_co_u32 v4, vcc_lo, s8, v4
	v_add_co_ci_u32_e32 v5, vcc_lo, s9, v5, vcc_lo
	s_delay_alu instid0(VALU_DEP_2) | instskip(NEXT) | instid1(VALU_DEP_2)
	v_add_co_u32 v54, vcc_lo, v4, v0
	v_add_co_ci_u32_e32 v55, vcc_lo, v5, v1, vcc_lo
	s_delay_alu instid0(VALU_DEP_2) | instskip(NEXT) | instid1(VALU_DEP_2)
	v_add_co_u32 v0, vcc_lo, 0x1000, v54
	v_add_co_ci_u32_e32 v1, vcc_lo, 0, v55, vcc_lo
	s_waitcnt lgkmcnt(8)
	global_store_b128 v[54:55], v[6:9], off
	s_waitcnt lgkmcnt(7)
	global_store_b128 v[54:55], v[10:13], off offset:960
	s_waitcnt lgkmcnt(6)
	global_store_b128 v[54:55], v[14:17], off offset:1920
	;; [unrolled: 2-line block ×5, first 2 shown]
	ds_load_b128 v[6:9], v232 offset:7680
	ds_load_b128 v[10:13], v232 offset:8640
	;; [unrolled: 1-line block ×6, first 2 shown]
	s_waitcnt lgkmcnt(8)
	global_store_b128 v[0:1], v[30:33], off offset:1664
	s_waitcnt lgkmcnt(7)
	global_store_b128 v[0:1], v[34:37], off offset:2624
	ds_load_b128 v[30:33], v232 offset:13440
	ds_load_b128 v[34:37], v232 offset:14400
	;; [unrolled: 1-line block ×5, first 2 shown]
	v_add_co_u32 v56, vcc_lo, 0x2000, v54
	v_add_co_ci_u32_e32 v57, vcc_lo, 0, v55, vcc_lo
	v_add_co_u32 v58, vcc_lo, 0x3000, v54
	v_add_co_ci_u32_e32 v59, vcc_lo, 0, v55, vcc_lo
	s_waitcnt lgkmcnt(10)
	global_store_b128 v[0:1], v[6:9], off offset:3584
	s_waitcnt lgkmcnt(9)
	global_store_b128 v[56:57], v[10:13], off offset:448
	;; [unrolled: 2-line block ×6, first 2 shown]
	v_add_co_u32 v0, vcc_lo, v4, v2
	v_add_co_ci_u32_e32 v1, vcc_lo, v5, v3, vcc_lo
	v_add_co_u32 v56, vcc_lo, 0x4000, v54
	v_add_co_ci_u32_e32 v57, vcc_lo, 0, v55, vcc_lo
	ds_load_b128 v[6:9], v232 offset:18240
	ds_load_b128 v[10:13], v232 offset:19200
	s_waitcnt lgkmcnt(6)
	global_store_b128 v[58:59], v[30:33], off offset:1152
	s_waitcnt lgkmcnt(5)
	global_store_b128 v[58:59], v[34:37], off offset:2112
	s_waitcnt lgkmcnt(4)
	global_store_b128 v[0:1], v[42:45], off
	s_waitcnt lgkmcnt(3)
	global_store_b128 v[58:59], v[46:49], off offset:4032
	s_waitcnt lgkmcnt(2)
	global_store_b128 v[56:57], v[50:53], off offset:896
	ds_load_b128 v[0:3], v232 offset:20160
	ds_load_b128 v[14:17], v232 offset:21120
	;; [unrolled: 1-line block ×6, first 2 shown]
	v_add_co_u32 v50, vcc_lo, 0x5000, v54
	v_add_co_ci_u32_e32 v51, vcc_lo, 0, v55, vcc_lo
	v_add_co_u32 v52, vcc_lo, 0x6000, v54
	s_waitcnt lgkmcnt(7)
	global_store_b128 v[56:57], v[6:9], off offset:1856
	s_waitcnt lgkmcnt(6)
	global_store_b128 v[56:57], v[10:13], off offset:2816
	v_add_co_ci_u32_e32 v53, vcc_lo, 0, v55, vcc_lo
	ds_load_b128 v[6:9], v232 offset:25920
	ds_load_b128 v[10:13], v232 offset:26880
	;; [unrolled: 1-line block ×5, first 2 shown]
	s_waitcnt lgkmcnt(10)
	global_store_b128 v[56:57], v[0:3], off offset:3776
	s_waitcnt lgkmcnt(9)
	global_store_b128 v[50:51], v[14:17], off offset:640
	s_waitcnt lgkmcnt(8)
	global_store_b128 v[50:51], v[18:21], off offset:1600
	s_waitcnt lgkmcnt(7)
	global_store_b128 v[50:51], v[22:25], off offset:2560
	s_waitcnt lgkmcnt(6)
	global_store_b128 v[50:51], v[26:29], off offset:3520
	s_waitcnt lgkmcnt(5)
	global_store_b128 v[52:53], v[30:33], off offset:384
	scratch_load_b64 v[0:1], off, off offset:24 ; 8-byte Folded Reload
	v_add_co_u32 v22, vcc_lo, 0x7000, v54
	v_add_co_ci_u32_e32 v23, vcc_lo, 0, v55, vcc_lo
	s_waitcnt vmcnt(0)
	v_mov_b32_e32 v59, v0
	ds_load_b128 v[0:3], v232 offset:30720
	ds_load_b128 v[14:17], v232 offset:31680
	;; [unrolled: 1-line block ×3, first 2 shown]
	s_waitcnt lgkmcnt(7)
	global_store_b128 v[52:53], v[6:9], off offset:1344
	s_waitcnt lgkmcnt(6)
	global_store_b128 v[52:53], v[10:13], off offset:2304
	;; [unrolled: 2-line block ×5, first 2 shown]
	v_lshlrev_b64 v[24:25], 4, v[59:60]
	s_delay_alu instid0(VALU_DEP_1) | instskip(NEXT) | instid1(VALU_DEP_2)
	v_add_co_u32 v6, vcc_lo, v4, v24
	v_add_co_ci_u32_e32 v7, vcc_lo, v5, v25, vcc_lo
	v_add_co_u32 v8, vcc_lo, 0x8000, v54
	v_add_co_ci_u32_e32 v9, vcc_lo, 0, v55, vcc_lo
	v_cmp_eq_u32_e32 vcc_lo, 59, v172
	s_waitcnt lgkmcnt(2)
	global_store_b128 v[6:7], v[0:3], off
	s_waitcnt lgkmcnt(1)
	global_store_b128 v[22:23], v[14:17], off offset:3008
	s_waitcnt lgkmcnt(0)
	s_clause 0x1
	global_store_b128 v[22:23], v[18:21], off offset:3968
	global_store_b128 v[8:9], v[38:41], off offset:832
	s_and_b32 exec_lo, exec_lo, vcc_lo
	s_cbranch_execz .LBB0_22
; %bb.21:
	v_mov_b32_e32 v0, 0
	v_add_co_u32 v4, vcc_lo, 0x8000, v4
	v_add_co_ci_u32_e32 v5, vcc_lo, 0, v5, vcc_lo
	ds_load_b128 v[0:3], v0 offset:34560
	s_waitcnt lgkmcnt(0)
	global_store_b128 v[4:5], v[0:3], off offset:1792
.LBB0_22:
	s_nop 0
	s_sendmsg sendmsg(MSG_DEALLOC_VGPRS)
	s_endpgm
	.section	.rodata,"a",@progbits
	.p2align	6, 0x0
	.amdhsa_kernel fft_rtc_fwd_len2160_factors_10_6_6_6_wgs_60_tpt_60_halfLds_dp_ip_CI_unitstride_sbrr_R2C_dirReg
		.amdhsa_group_segment_fixed_size 0
		.amdhsa_private_segment_fixed_size 60
		.amdhsa_kernarg_size 88
		.amdhsa_user_sgpr_count 15
		.amdhsa_user_sgpr_dispatch_ptr 0
		.amdhsa_user_sgpr_queue_ptr 0
		.amdhsa_user_sgpr_kernarg_segment_ptr 1
		.amdhsa_user_sgpr_dispatch_id 0
		.amdhsa_user_sgpr_private_segment_size 0
		.amdhsa_wavefront_size32 1
		.amdhsa_uses_dynamic_stack 0
		.amdhsa_enable_private_segment 1
		.amdhsa_system_sgpr_workgroup_id_x 1
		.amdhsa_system_sgpr_workgroup_id_y 0
		.amdhsa_system_sgpr_workgroup_id_z 0
		.amdhsa_system_sgpr_workgroup_info 0
		.amdhsa_system_vgpr_workitem_id 0
		.amdhsa_next_free_vgpr 256
		.amdhsa_next_free_sgpr 21
		.amdhsa_reserve_vcc 1
		.amdhsa_float_round_mode_32 0
		.amdhsa_float_round_mode_16_64 0
		.amdhsa_float_denorm_mode_32 3
		.amdhsa_float_denorm_mode_16_64 3
		.amdhsa_dx10_clamp 1
		.amdhsa_ieee_mode 1
		.amdhsa_fp16_overflow 0
		.amdhsa_workgroup_processor_mode 1
		.amdhsa_memory_ordered 1
		.amdhsa_forward_progress 0
		.amdhsa_shared_vgpr_count 0
		.amdhsa_exception_fp_ieee_invalid_op 0
		.amdhsa_exception_fp_denorm_src 0
		.amdhsa_exception_fp_ieee_div_zero 0
		.amdhsa_exception_fp_ieee_overflow 0
		.amdhsa_exception_fp_ieee_underflow 0
		.amdhsa_exception_fp_ieee_inexact 0
		.amdhsa_exception_int_div_zero 0
	.end_amdhsa_kernel
	.text
.Lfunc_end0:
	.size	fft_rtc_fwd_len2160_factors_10_6_6_6_wgs_60_tpt_60_halfLds_dp_ip_CI_unitstride_sbrr_R2C_dirReg, .Lfunc_end0-fft_rtc_fwd_len2160_factors_10_6_6_6_wgs_60_tpt_60_halfLds_dp_ip_CI_unitstride_sbrr_R2C_dirReg
                                        ; -- End function
	.section	.AMDGPU.csdata,"",@progbits
; Kernel info:
; codeLenInByte = 27364
; NumSgprs: 23
; NumVgprs: 256
; ScratchSize: 60
; MemoryBound: 0
; FloatMode: 240
; IeeeMode: 1
; LDSByteSize: 0 bytes/workgroup (compile time only)
; SGPRBlocks: 2
; VGPRBlocks: 31
; NumSGPRsForWavesPerEU: 23
; NumVGPRsForWavesPerEU: 256
; Occupancy: 5
; WaveLimiterHint : 1
; COMPUTE_PGM_RSRC2:SCRATCH_EN: 1
; COMPUTE_PGM_RSRC2:USER_SGPR: 15
; COMPUTE_PGM_RSRC2:TRAP_HANDLER: 0
; COMPUTE_PGM_RSRC2:TGID_X_EN: 1
; COMPUTE_PGM_RSRC2:TGID_Y_EN: 0
; COMPUTE_PGM_RSRC2:TGID_Z_EN: 0
; COMPUTE_PGM_RSRC2:TIDIG_COMP_CNT: 0
	.text
	.p2alignl 7, 3214868480
	.fill 96, 4, 3214868480
	.type	__hip_cuid_40dbaae65d455909,@object ; @__hip_cuid_40dbaae65d455909
	.section	.bss,"aw",@nobits
	.globl	__hip_cuid_40dbaae65d455909
__hip_cuid_40dbaae65d455909:
	.byte	0                               ; 0x0
	.size	__hip_cuid_40dbaae65d455909, 1

	.ident	"AMD clang version 19.0.0git (https://github.com/RadeonOpenCompute/llvm-project roc-6.4.0 25133 c7fe45cf4b819c5991fe208aaa96edf142730f1d)"
	.section	".note.GNU-stack","",@progbits
	.addrsig
	.addrsig_sym __hip_cuid_40dbaae65d455909
	.amdgpu_metadata
---
amdhsa.kernels:
  - .args:
      - .actual_access:  read_only
        .address_space:  global
        .offset:         0
        .size:           8
        .value_kind:     global_buffer
      - .offset:         8
        .size:           8
        .value_kind:     by_value
      - .actual_access:  read_only
        .address_space:  global
        .offset:         16
        .size:           8
        .value_kind:     global_buffer
      - .actual_access:  read_only
        .address_space:  global
        .offset:         24
        .size:           8
        .value_kind:     global_buffer
      - .offset:         32
        .size:           8
        .value_kind:     by_value
      - .actual_access:  read_only
        .address_space:  global
        .offset:         40
        .size:           8
        .value_kind:     global_buffer
      - .actual_access:  read_only
        .address_space:  global
        .offset:         48
        .size:           8
        .value_kind:     global_buffer
      - .offset:         56
        .size:           4
        .value_kind:     by_value
      - .actual_access:  read_only
        .address_space:  global
        .offset:         64
        .size:           8
        .value_kind:     global_buffer
      - .actual_access:  read_only
        .address_space:  global
        .offset:         72
        .size:           8
        .value_kind:     global_buffer
      - .address_space:  global
        .offset:         80
        .size:           8
        .value_kind:     global_buffer
    .group_segment_fixed_size: 0
    .kernarg_segment_align: 8
    .kernarg_segment_size: 88
    .language:       OpenCL C
    .language_version:
      - 2
      - 0
    .max_flat_workgroup_size: 60
    .name:           fft_rtc_fwd_len2160_factors_10_6_6_6_wgs_60_tpt_60_halfLds_dp_ip_CI_unitstride_sbrr_R2C_dirReg
    .private_segment_fixed_size: 60
    .sgpr_count:     23
    .sgpr_spill_count: 0
    .symbol:         fft_rtc_fwd_len2160_factors_10_6_6_6_wgs_60_tpt_60_halfLds_dp_ip_CI_unitstride_sbrr_R2C_dirReg.kd
    .uniform_work_group_size: 1
    .uses_dynamic_stack: false
    .vgpr_count:     256
    .vgpr_spill_count: 20
    .wavefront_size: 32
    .workgroup_processor_mode: 1
amdhsa.target:   amdgcn-amd-amdhsa--gfx1100
amdhsa.version:
  - 1
  - 2
...

	.end_amdgpu_metadata
